;; amdgpu-corpus repo=ROCm/rocFFT kind=compiled arch=gfx906 opt=O3
	.text
	.amdgcn_target "amdgcn-amd-amdhsa--gfx906"
	.amdhsa_code_object_version 6
	.protected	bluestein_single_fwd_len1080_dim1_sp_op_CI_CI ; -- Begin function bluestein_single_fwd_len1080_dim1_sp_op_CI_CI
	.globl	bluestein_single_fwd_len1080_dim1_sp_op_CI_CI
	.p2align	8
	.type	bluestein_single_fwd_len1080_dim1_sp_op_CI_CI,@function
bluestein_single_fwd_len1080_dim1_sp_op_CI_CI: ; @bluestein_single_fwd_len1080_dim1_sp_op_CI_CI
; %bb.0:
	s_load_dwordx4 s[0:3], s[4:5], 0x28
	v_mul_u32_u24_e32 v1, 0x25f, v0
	v_lshrrev_b32_e32 v4, 16, v1
	v_lshl_add_u32 v66, s6, 1, v4
	v_mov_b32_e32 v67, 0
	s_waitcnt lgkmcnt(0)
	v_cmp_gt_u64_e32 vcc, s[0:1], v[66:67]
	s_and_saveexec_b64 s[0:1], vcc
	s_cbranch_execz .LBB0_31
; %bb.1:
	s_load_dwordx4 s[8:11], s[4:5], 0x18
	v_mul_lo_u16_e32 v1, 0x6c, v4
	v_sub_u16_e32 v94, v0, v1
	v_lshlrev_b32_e32 v96, 3, v94
	v_mov_b32_e32 v17, 0x438
	s_waitcnt lgkmcnt(0)
	s_load_dwordx4 s[12:15], s[8:9], 0x0
	s_load_dwordx2 s[6:7], s[4:5], 0x38
	s_waitcnt lgkmcnt(0)
	v_mad_u64_u32 v[0:1], s[0:1], s14, v66, 0
	v_mad_u64_u32 v[2:3], s[0:1], s12, v94, 0
	;; [unrolled: 1-line block ×4, first 2 shown]
	v_mov_b32_e32 v1, v5
	s_load_dwordx2 s[14:15], s[4:5], 0x0
	v_lshlrev_b64 v[0:1], 3, v[0:1]
	v_mov_b32_e32 v7, s3
	v_mov_b32_e32 v3, v6
	v_add_co_u32_e32 v5, vcc, s2, v0
	v_addc_co_u32_e32 v6, vcc, v7, v1, vcc
	v_lshlrev_b64 v[0:1], 3, v[2:3]
	s_mul_i32 s0, s13, 0xb4
	s_mul_hi_u32 s1, s12, 0xb4
	v_add_co_u32_e32 v0, vcc, v5, v0
	s_waitcnt lgkmcnt(0)
	v_mov_b32_e32 v2, s15
	v_add_co_u32_e64 v64, s[2:3], s14, v96
	s_add_i32 s1, s1, s0
	s_mul_i32 s0, s12, 0xb4
	v_addc_co_u32_e32 v1, vcc, v6, v1, vcc
	v_addc_co_u32_e64 v65, vcc, 0, v2, s[2:3]
	s_lshl_b64 s[16:17], s[0:1], 3
	global_load_dwordx2 v[5:6], v[0:1], off
	v_mov_b32_e32 v15, s17
	v_add_co_u32_e32 v0, vcc, s16, v0
	v_addc_co_u32_e32 v1, vcc, v1, v15, vcc
	v_add_co_u32_e32 v2, vcc, s16, v0
	v_addc_co_u32_e32 v3, vcc, v1, v15, vcc
	;; [unrolled: 2-line block ×3, first 2 shown]
	s_movk_i32 s0, 0x1000
	global_load_dwordx2 v[77:78], v96, s[14:15]
	global_load_dwordx2 v[75:76], v96, s[14:15] offset:1440
	global_load_dwordx2 v[71:72], v96, s[14:15] offset:2880
	global_load_dwordx2 v[9:10], v[0:1], off
	global_load_dwordx2 v[11:12], v[2:3], off
	;; [unrolled: 1-line block ×3, first 2 shown]
	v_add_co_u32_e32 v0, vcc, s0, v64
	v_addc_co_u32_e32 v1, vcc, 0, v65, vcc
	v_add_co_u32_e32 v2, vcc, s16, v7
	global_load_dwordx2 v[73:74], v[0:1], off offset:224
	v_addc_co_u32_e32 v3, vcc, v8, v15, vcc
	global_load_dwordx2 v[7:8], v[2:3], off
	global_load_dwordx2 v[69:70], v[0:1], off offset:1664
	v_add_co_u32_e32 v2, vcc, s16, v2
	v_addc_co_u32_e32 v3, vcc, v3, v15, vcc
	global_load_dwordx2 v[67:68], v[0:1], off offset:3104
	global_load_dwordx2 v[15:16], v[2:3], off
	v_and_b32_e32 v4, 1, v4
	v_cmp_eq_u32_e32 vcc, 1, v4
	v_cndmask_b32_e32 v101, 0, v17, vcc
	v_lshlrev_b32_e32 v95, 3, v101
	v_add_u32_e32 v93, v95, v96
	s_load_dwordx4 s[8:11], s[10:11], 0x0
	v_add_u32_e32 v4, 0xa00, v93
	s_movk_i32 s0, 0x48
	v_cmp_gt_u16_e64 s[0:1], s0, v94
	s_waitcnt vmcnt(10)
	v_mul_f32_e32 v17, v6, v78
	v_mul_f32_e32 v18, v5, v78
	v_fmac_f32_e32 v17, v5, v77
	v_fma_f32 v18, v6, v77, -v18
	s_waitcnt vmcnt(7)
	v_mul_f32_e32 v5, v10, v76
	v_mul_f32_e32 v6, v9, v76
	v_fmac_f32_e32 v5, v9, v75
	v_fma_f32 v6, v10, v75, -v6
	s_waitcnt vmcnt(6)
	v_mul_f32_e32 v9, v12, v72
	v_mul_f32_e32 v10, v11, v72
	ds_write2_b64 v93, v[17:18], v[5:6] offset1:180
	s_waitcnt vmcnt(4)
	v_mul_f32_e32 v5, v14, v74
	v_mul_f32_e32 v6, v13, v74
	v_fmac_f32_e32 v9, v11, v71
	v_fma_f32 v10, v12, v71, -v10
	v_fmac_f32_e32 v5, v13, v73
	v_fma_f32 v6, v14, v73, -v6
	s_waitcnt vmcnt(2)
	v_mul_f32_e32 v11, v8, v70
	v_mul_f32_e32 v12, v7, v70
	ds_write2_b64 v4, v[9:10], v[5:6] offset0:40 offset1:220
	s_waitcnt vmcnt(0)
	v_mul_f32_e32 v6, v16, v68
	v_mul_f32_e32 v5, v15, v68
	v_fmac_f32_e32 v11, v7, v69
	v_fma_f32 v12, v8, v69, -v12
	v_fmac_f32_e32 v6, v15, v67
	v_fma_f32 v7, v16, v67, -v5
	v_add_u32_e32 v5, 0x1600, v93
	ds_write2_b64 v5, v[11:12], v[6:7] offset0:16 offset1:196
	s_and_saveexec_b64 s[18:19], s[0:1]
	s_cbranch_execz .LBB0_3
; %bb.2:
	v_mov_b32_e32 v6, 0xffffe740
	v_mad_u64_u32 v[2:3], s[20:21], s12, v6, v[2:3]
	s_mulk_i32 s13, 0xe740
	s_sub_i32 s12, s13, s12
	v_add_u32_e32 v3, s12, v3
	global_load_dwordx2 v[6:7], v[2:3], off
	v_mov_b32_e32 v26, s17
	v_add_co_u32_e32 v2, vcc, s16, v2
	v_addc_co_u32_e32 v3, vcc, v3, v26, vcc
	global_load_dwordx2 v[8:9], v[2:3], off
	global_load_dwordx2 v[10:11], v[64:65], off offset:864
	global_load_dwordx2 v[12:13], v[64:65], off offset:2304
	v_add_co_u32_e32 v2, vcc, s16, v2
	v_addc_co_u32_e32 v3, vcc, v3, v26, vcc
	global_load_dwordx2 v[14:15], v[2:3], off
	v_add_co_u32_e32 v2, vcc, s16, v2
	v_addc_co_u32_e32 v3, vcc, v3, v26, vcc
	global_load_dwordx2 v[16:17], v[64:65], off offset:3744
	global_load_dwordx2 v[18:19], v[2:3], off
	global_load_dwordx2 v[20:21], v[0:1], off offset:1088
	v_add_co_u32_e32 v2, vcc, s16, v2
	v_addc_co_u32_e32 v3, vcc, v3, v26, vcc
	global_load_dwordx2 v[22:23], v[2:3], off
	global_load_dwordx2 v[24:25], v[0:1], off offset:2528
	v_add_co_u32_e32 v2, vcc, s16, v2
	v_addc_co_u32_e32 v3, vcc, v3, v26, vcc
	global_load_dwordx2 v[26:27], v[0:1], off offset:3968
	global_load_dwordx2 v[28:29], v[2:3], off
	v_add_u32_e32 v30, 0x200, v93
	v_add_u32_e32 v31, 0xe00, v93
	s_waitcnt vmcnt(9)
	v_mul_f32_e32 v0, v7, v11
	v_mul_f32_e32 v1, v6, v11
	s_waitcnt vmcnt(8)
	v_mul_f32_e32 v2, v9, v13
	v_mul_f32_e32 v3, v8, v13
	v_fmac_f32_e32 v0, v6, v10
	v_fma_f32 v1, v7, v10, -v1
	v_fmac_f32_e32 v2, v8, v12
	v_fma_f32 v3, v9, v12, -v3
	ds_write2_b64 v30, v[0:1], v[2:3] offset0:44 offset1:224
	s_waitcnt vmcnt(6)
	v_mul_f32_e32 v6, v15, v17
	v_mul_f32_e32 v7, v14, v17
	s_waitcnt vmcnt(4)
	v_mul_f32_e32 v0, v19, v21
	v_mul_f32_e32 v1, v18, v21
	v_fmac_f32_e32 v6, v14, v16
	v_fma_f32 v7, v15, v16, -v7
	v_fmac_f32_e32 v0, v18, v20
	v_fma_f32 v1, v19, v20, -v1
	s_waitcnt vmcnt(2)
	v_mul_f32_e32 v2, v23, v25
	v_mul_f32_e32 v3, v22, v25
	ds_write2_b64 v31, v[6:7], v[0:1] offset0:20 offset1:200
	v_fmac_f32_e32 v2, v22, v24
	s_waitcnt vmcnt(0)
	v_mul_f32_e32 v0, v29, v27
	v_mul_f32_e32 v1, v28, v27
	v_fma_f32 v3, v23, v24, -v3
	v_fmac_f32_e32 v0, v28, v26
	v_fma_f32 v1, v29, v26, -v1
	v_add_u32_e32 v6, 0x1800, v93
	ds_write2_b64 v6, v[2:3], v[0:1] offset0:60 offset1:240
.LBB0_3:
	s_or_b64 exec, exec, s[18:19]
	s_waitcnt lgkmcnt(0)
	s_barrier
	ds_read2_b64 v[12:15], v93 offset1:180
	ds_read2_b64 v[16:19], v4 offset0:40 offset1:220
	ds_read2_b64 v[20:23], v5 offset0:16 offset1:196
	s_load_dwordx2 s[12:13], s[4:5], 0x8
                                        ; implicit-def: $vgpr0
                                        ; implicit-def: $vgpr4
                                        ; implicit-def: $vgpr8
	s_and_saveexec_b64 s[4:5], s[0:1]
	s_cbranch_execz .LBB0_5
; %bb.4:
	v_add_u32_e32 v0, 0x200, v93
	v_add_u32_e32 v4, 0xe00, v93
	;; [unrolled: 1-line block ×3, first 2 shown]
	ds_read2_b64 v[0:3], v0 offset0:44 offset1:224
	ds_read2_b64 v[4:7], v4 offset0:20 offset1:200
	;; [unrolled: 1-line block ×3, first 2 shown]
.LBB0_5:
	s_or_b64 exec, exec, s[4:5]
	s_waitcnt lgkmcnt(0)
	v_add_f32_e32 v24, v12, v16
	v_add_f32_e32 v26, v24, v20
	;; [unrolled: 1-line block ×3, first 2 shown]
	v_fma_f32 v12, -0.5, v24, v12
	v_sub_f32_e32 v24, v17, v21
	v_mov_b32_e32 v27, v12
	v_fmac_f32_e32 v27, 0x3f5db3d7, v24
	v_fmac_f32_e32 v12, 0xbf5db3d7, v24
	v_add_f32_e32 v24, v13, v17
	v_add_f32_e32 v17, v17, v21
	v_fma_f32 v13, -0.5, v17, v13
	v_sub_f32_e32 v16, v16, v20
	v_mov_b32_e32 v17, v13
	v_add_f32_e32 v20, v18, v22
	v_fmac_f32_e32 v17, 0xbf5db3d7, v16
	v_fmac_f32_e32 v13, 0x3f5db3d7, v16
	v_add_f32_e32 v16, v14, v18
	v_fma_f32 v14, -0.5, v20, v14
	v_sub_f32_e32 v20, v19, v23
	v_mov_b32_e32 v25, v14
	v_fmac_f32_e32 v25, 0x3f5db3d7, v20
	v_fmac_f32_e32 v14, 0xbf5db3d7, v20
	v_add_f32_e32 v20, v15, v19
	v_add_f32_e32 v19, v19, v23
	v_fmac_f32_e32 v15, -0.5, v19
	v_sub_f32_e32 v18, v18, v22
	v_mov_b32_e32 v19, v15
	v_fmac_f32_e32 v15, 0x3f5db3d7, v18
	v_mul_f32_e32 v30, -0.5, v14
	v_fmac_f32_e32 v19, 0xbf5db3d7, v18
	v_fmac_f32_e32 v30, 0x3f5db3d7, v15
	v_add_f32_e32 v29, v24, v21
	v_mul_f32_e32 v18, 0x3f5db3d7, v19
	v_add_f32_e32 v24, v12, v30
	v_mul_f32_e32 v15, -0.5, v15
	v_sub_f32_e32 v30, v12, v30
	v_add_f32_e32 v12, v4, v8
	v_add_f32_e32 v31, v20, v23
	v_fmac_f32_e32 v18, 0.5, v25
	v_fmac_f32_e32 v15, 0xbf5db3d7, v14
	v_fma_f32 v12, -0.5, v12, v0
	v_add_f32_e32 v16, v16, v22
	v_add_f32_e32 v22, v27, v18
	;; [unrolled: 1-line block ×3, first 2 shown]
	v_mul_f32_e32 v32, 0xbf5db3d7, v25
	v_add_f32_e32 v25, v13, v15
	v_sub_f32_e32 v28, v27, v18
	v_sub_f32_e32 v27, v29, v31
	;; [unrolled: 1-line block ×4, first 2 shown]
	v_mov_b32_e32 v13, v12
	v_fmac_f32_e32 v13, 0x3f5db3d7, v14
	v_fmac_f32_e32 v12, 0xbf5db3d7, v14
	v_add_f32_e32 v14, v5, v9
	v_fma_f32 v14, -0.5, v14, v1
	v_add_f32_e32 v20, v26, v16
	v_sub_f32_e32 v26, v26, v16
	v_sub_f32_e32 v16, v4, v8
	v_mov_b32_e32 v15, v14
	v_fmac_f32_e32 v32, 0.5, v19
	v_fmac_f32_e32 v15, 0xbf5db3d7, v16
	v_fmac_f32_e32 v14, 0x3f5db3d7, v16
	v_add_f32_e32 v16, v6, v10
	v_add_f32_e32 v23, v17, v32
	v_sub_f32_e32 v29, v17, v32
	v_fma_f32 v32, -0.5, v16, v2
	v_sub_f32_e32 v16, v7, v11
	v_mov_b32_e32 v18, v32
	v_fmac_f32_e32 v18, 0x3f5db3d7, v16
	v_fmac_f32_e32 v32, 0xbf5db3d7, v16
	v_add_f32_e32 v16, v7, v11
	v_fma_f32 v19, -0.5, v16, v3
	v_sub_f32_e32 v16, v6, v10
	v_mov_b32_e32 v33, v19
	v_fmac_f32_e32 v33, 0xbf5db3d7, v16
	v_fmac_f32_e32 v19, 0x3f5db3d7, v16
	v_mul_f32_e32 v16, 0x3f5db3d7, v33
	v_mul_f32_e32 v17, -0.5, v32
	v_fmac_f32_e32 v16, 0.5, v18
	v_fmac_f32_e32 v17, 0x3f5db3d7, v19
	v_mul_f32_e32 v18, 0xbf5db3d7, v18
	v_mul_f32_e32 v19, -0.5, v19
	v_add_co_u32_e32 v104, vcc, 0x6c, v94
	v_fmac_f32_e32 v18, 0.5, v33
	v_fmac_f32_e32 v19, 0xbf5db3d7, v32
	v_mul_lo_u16_e32 v36, 6, v94
	v_sub_f32_e32 v32, v13, v16
	v_sub_f32_e32 v34, v12, v17
	;; [unrolled: 1-line block ×4, first 2 shown]
	v_lshl_add_u32 v98, v36, 3, v95
	v_mul_u32_u24_e32 v97, 6, v104
	s_barrier
	ds_write_b128 v98, v[20:23]
	ds_write_b128 v98, v[24:27] offset:16
	ds_write_b128 v98, v[28:31] offset:32
	s_and_saveexec_b64 s[4:5], s[0:1]
	s_cbranch_execz .LBB0_7
; %bb.6:
	v_add_f32_e32 v1, v1, v5
	v_add_f32_e32 v0, v0, v4
	;; [unrolled: 1-line block ×8, first 2 shown]
	v_sub_f32_e32 v3, v5, v9
	v_sub_f32_e32 v2, v4, v8
	v_add_f32_e32 v7, v15, v18
	v_add_f32_e32 v5, v5, v9
	;; [unrolled: 1-line block ×4, first 2 shown]
	v_lshl_add_u32 v8, v97, 3, v95
	v_add_f32_e32 v1, v14, v19
	v_add_f32_e32 v0, v12, v17
	ds_write_b128 v8, v[4:7]
	ds_write_b128 v8, v[0:3] offset:16
	ds_write_b128 v8, v[32:35] offset:32
.LBB0_7:
	s_or_b64 exec, exec, s[4:5]
	v_add_u32_e32 v0, 0x400, v93
	s_waitcnt lgkmcnt(0)
	s_barrier
	ds_read2_b64 v[21:24], v0 offset0:88 offset1:196
	v_add_u32_e32 v0, 0xc00, v93
	ds_read2_b64 v[25:28], v0 offset0:48 offset1:156
	v_add_u32_e32 v0, 0x1000, v93
	s_movk_i32 s4, 0xab
	ds_read2_b64 v[36:39], v0 offset0:136 offset1:244
	v_mul_lo_u16_sdwa v0, v94, s4 dst_sel:DWORD dst_unused:UNUSED_PAD src0_sel:BYTE_0 src1_sel:DWORD
	v_lshrrev_b16_e32 v31, 10, v0
	v_mul_lo_u16_e32 v0, 6, v31
	v_sub_u16_e32 v0, v94, v0
	v_and_b32_e32 v44, 0xff, v0
	v_mov_b32_e32 v0, s12
	s_movk_i32 s4, 0x48
	v_mov_b32_e32 v1, s13
	v_mad_u64_u32 v[29:30], s[4:5], v44, s4, v[0:1]
	v_add_u32_e32 v16, 0x1800, v93
	ds_read2_b64 v[17:20], v93 offset1:108
	ds_read2_b64 v[40:43], v16 offset0:96 offset1:204
	global_load_dwordx4 v[0:3], v[29:30], off offset:48
	global_load_dwordx4 v[4:7], v[29:30], off offset:32
	;; [unrolled: 1-line block ×3, first 2 shown]
	global_load_dwordx4 v[12:15], v[29:30], off
	global_load_dwordx2 v[79:80], v[29:30], off offset:64
	s_mov_b32 s4, 0x3f737871
	s_mov_b32 s5, 0x3f167918
	;; [unrolled: 1-line block ×4, first 2 shown]
	s_waitcnt vmcnt(0) lgkmcnt(0)
	s_barrier
	v_mul_f32_e32 v46, v19, v13
	v_mul_f32_e32 v45, v20, v13
	v_fmac_f32_e32 v46, v20, v12
	v_mul_f32_e32 v20, v21, v15
	v_fma_f32 v45, v19, v12, -v45
	v_mul_f32_e32 v19, v22, v15
	v_fmac_f32_e32 v20, v22, v14
	v_mul_f32_e32 v22, v23, v9
	v_fma_f32 v19, v21, v14, -v19
	;; [unrolled: 4-line block ×7, first 2 shown]
	v_mul_f32_e32 v38, v41, v3
	v_fmac_f32_e32 v39, v41, v2
	v_add_f32_e32 v41, v23, v27
	v_mul_f32_e32 v29, v43, v80
	v_mul_f32_e32 v30, v42, v80
	v_fma_f32 v41, -0.5, v41, v17
	v_fma_f32 v38, v40, v2, -v38
	v_fma_f32 v29, v42, v79, -v29
	v_fmac_f32_e32 v30, v43, v79
	v_sub_f32_e32 v42, v20, v39
	v_mov_b32_e32 v43, v41
	v_fmac_f32_e32 v43, 0x3f737871, v42
	v_sub_f32_e32 v47, v24, v28
	v_sub_f32_e32 v48, v19, v23
	;; [unrolled: 1-line block ×3, first 2 shown]
	v_fmac_f32_e32 v41, 0xbf737871, v42
	v_fmac_f32_e32 v43, 0x3f167918, v47
	v_add_f32_e32 v48, v48, v49
	v_fmac_f32_e32 v41, 0xbf167918, v47
	v_fmac_f32_e32 v43, 0x3e9e377a, v48
	;; [unrolled: 1-line block ×3, first 2 shown]
	v_add_f32_e32 v48, v19, v38
	v_fma_f32 v48, -0.5, v48, v17
	v_mov_b32_e32 v49, v48
	v_add_f32_e32 v40, v17, v19
	v_fmac_f32_e32 v49, 0xbf737871, v47
	v_sub_f32_e32 v17, v23, v19
	v_sub_f32_e32 v50, v27, v38
	v_fmac_f32_e32 v48, 0x3f737871, v47
	v_fmac_f32_e32 v49, 0x3f167918, v42
	v_add_f32_e32 v17, v17, v50
	v_fmac_f32_e32 v48, 0xbf167918, v42
	v_fmac_f32_e32 v49, 0x3e9e377a, v17
	;; [unrolled: 1-line block ×3, first 2 shown]
	v_add_f32_e32 v17, v18, v20
	v_add_f32_e32 v17, v17, v24
	;; [unrolled: 1-line block ×5, first 2 shown]
	v_fma_f32 v50, -0.5, v17, v18
	v_add_f32_e32 v40, v40, v23
	v_sub_f32_e32 v17, v19, v38
	v_mov_b32_e32 v51, v50
	v_add_f32_e32 v40, v40, v27
	v_fmac_f32_e32 v51, 0xbf737871, v17
	v_sub_f32_e32 v19, v23, v27
	v_sub_f32_e32 v23, v20, v24
	;; [unrolled: 1-line block ×3, first 2 shown]
	v_fmac_f32_e32 v50, 0x3f737871, v17
	v_fmac_f32_e32 v51, 0xbf167918, v19
	v_add_f32_e32 v23, v23, v27
	v_fmac_f32_e32 v50, 0x3f167918, v19
	v_fmac_f32_e32 v51, 0x3e9e377a, v23
	v_fmac_f32_e32 v50, 0x3e9e377a, v23
	v_add_f32_e32 v23, v20, v39
	v_fma_f32 v52, -0.5, v23, v18
	v_mov_b32_e32 v53, v52
	v_fmac_f32_e32 v53, 0x3f737871, v19
	v_fmac_f32_e32 v52, 0xbf737871, v19
	v_fmac_f32_e32 v53, 0xbf167918, v17
	v_fmac_f32_e32 v52, 0x3f167918, v17
	v_add_f32_e32 v17, v45, v21
	v_add_f32_e32 v17, v17, v25
	;; [unrolled: 1-line block ×5, first 2 shown]
	v_sub_f32_e32 v18, v24, v20
	v_sub_f32_e32 v20, v28, v39
	v_fma_f32 v28, -0.5, v17, v45
	v_add_f32_e32 v18, v18, v20
	v_sub_f32_e32 v17, v22, v30
	v_mov_b32_e32 v20, v28
	v_fmac_f32_e32 v53, 0x3e9e377a, v18
	v_fmac_f32_e32 v52, 0x3e9e377a, v18
	;; [unrolled: 1-line block ×3, first 2 shown]
	v_sub_f32_e32 v18, v26, v37
	v_sub_f32_e32 v19, v21, v25
	;; [unrolled: 1-line block ×3, first 2 shown]
	v_fmac_f32_e32 v28, 0xbf737871, v17
	v_fmac_f32_e32 v20, 0x3f167918, v18
	v_add_f32_e32 v19, v19, v23
	v_fmac_f32_e32 v28, 0xbf167918, v18
	v_fmac_f32_e32 v20, 0x3e9e377a, v19
	;; [unrolled: 1-line block ×3, first 2 shown]
	v_add_f32_e32 v19, v21, v29
	v_fmac_f32_e32 v45, -0.5, v19
	v_mov_b32_e32 v24, v45
	v_fmac_f32_e32 v24, 0xbf737871, v18
	v_fmac_f32_e32 v45, 0x3f737871, v18
	;; [unrolled: 1-line block ×4, first 2 shown]
	v_add_f32_e32 v17, v46, v22
	v_add_f32_e32 v17, v17, v26
	v_add_f32_e32 v17, v17, v37
	v_add_f32_e32 v39, v17, v30
	v_add_f32_e32 v17, v26, v37
	v_add_f32_e32 v40, v40, v38
	v_sub_f32_e32 v19, v25, v21
	v_sub_f32_e32 v23, v36, v29
	v_fma_f32 v38, -0.5, v17, v46
	v_add_f32_e32 v19, v19, v23
	v_sub_f32_e32 v17, v21, v29
	v_mov_b32_e32 v29, v38
	v_fmac_f32_e32 v24, 0x3e9e377a, v19
	v_fmac_f32_e32 v45, 0x3e9e377a, v19
	;; [unrolled: 1-line block ×3, first 2 shown]
	v_sub_f32_e32 v18, v25, v36
	v_sub_f32_e32 v19, v22, v26
	;; [unrolled: 1-line block ×3, first 2 shown]
	v_fmac_f32_e32 v38, 0x3f737871, v17
	v_fmac_f32_e32 v29, 0xbf167918, v18
	v_add_f32_e32 v19, v19, v21
	v_fmac_f32_e32 v38, 0x3f167918, v18
	v_fmac_f32_e32 v29, 0x3e9e377a, v19
	;; [unrolled: 1-line block ×3, first 2 shown]
	v_add_f32_e32 v19, v22, v30
	v_fmac_f32_e32 v46, -0.5, v19
	v_mov_b32_e32 v36, v46
	v_fmac_f32_e32 v36, 0x3f737871, v18
	v_sub_f32_e32 v19, v26, v22
	v_sub_f32_e32 v21, v37, v30
	v_fmac_f32_e32 v46, 0xbf737871, v18
	v_fmac_f32_e32 v36, 0xbf167918, v17
	v_add_f32_e32 v19, v19, v21
	v_fmac_f32_e32 v46, 0x3f167918, v17
	v_mul_f32_e32 v55, 0xbf167918, v20
	v_fmac_f32_e32 v36, 0x3e9e377a, v19
	v_fmac_f32_e32 v46, 0x3e9e377a, v19
	v_mul_f32_e32 v30, 0x3f167918, v29
	v_mul_f32_e32 v18, 0x3e9e377a, v45
	v_fmac_f32_e32 v55, 0x3f4f1bbd, v29
	v_mul_f32_e32 v29, 0xbf737871, v24
	v_mul_f32_e32 v37, 0x3f737871, v36
	v_fma_f32 v42, v46, s4, -v18
	v_mul_f32_e32 v18, 0x3f4f1bbd, v28
	v_fmac_f32_e32 v29, 0x3e9e377a, v36
	v_mul_f32_e32 v26, 0x3f4f1bbd, v38
	v_fmac_f32_e32 v37, 0x3e9e377a, v24
	v_fma_f32 v54, v38, s5, -v18
	v_add_f32_e32 v18, v47, v39
	v_add_f32_e32 v22, v53, v29
	v_mul_f32_e32 v24, 0x3e9e377a, v46
	v_fma_f32 v46, v28, s16, -v26
	v_sub_f32_e32 v28, v47, v39
	v_sub_f32_e32 v39, v53, v29
	v_mul_u32_u24_e32 v29, 60, v31
	v_fmac_f32_e32 v30, 0x3f4f1bbd, v20
	v_add_u32_e32 v29, v29, v44
	v_add_f32_e32 v17, v40, v27
	v_add_f32_e32 v19, v43, v30
	;; [unrolled: 1-line block ×3, first 2 shown]
	v_fma_f32 v45, v45, s14, -v24
	v_lshl_add_u32 v102, v29, 3, v95
	v_add_f32_e32 v21, v49, v37
	v_add_f32_e32 v23, v48, v42
	;; [unrolled: 1-line block ×5, first 2 shown]
	v_sub_f32_e32 v27, v40, v27
	v_sub_f32_e32 v36, v43, v30
	;; [unrolled: 1-line block ×8, first 2 shown]
	ds_write2_b64 v102, v[17:18], v[19:20] offset1:6
	ds_write2_b64 v102, v[21:22], v[23:24] offset0:12 offset1:18
	ds_write2_b64 v102, v[25:26], v[27:28] offset0:24 offset1:30
	;; [unrolled: 1-line block ×4, first 2 shown]
	v_add_u32_e32 v17, 0xa00, v93
	s_waitcnt lgkmcnt(0)
	s_barrier
	ds_read2_b64 v[48:51], v17 offset0:40 offset1:220
	v_add_u32_e32 v17, 0x1600, v93
	ds_read2_b64 v[44:47], v93 offset1:180
	ds_read2_b64 v[52:55], v17 offset0:16 offset1:196
	s_and_saveexec_b64 s[4:5], s[0:1]
	s_cbranch_execz .LBB0_9
; %bb.8:
	v_add_u32_e32 v17, 0x200, v93
	ds_read2_b64 v[36:39], v17 offset0:44 offset1:224
	v_add_u32_e32 v17, 0xe00, v93
	ds_read2_b64 v[40:43], v17 offset0:20 offset1:200
	ds_read2_b64 v[32:35], v16 offset0:60 offset1:240
.LBB0_9:
	s_or_b64 exec, exec, s[4:5]
	v_subrev_u32_e32 v16, 60, v94
	v_cmp_gt_u16_e32 vcc, 60, v94
	v_cndmask_b32_e32 v58, v16, v94, vcc
	v_mul_i32_i24_e32 v17, 40, v58
	v_mul_hi_i32_i24_e32 v16, 40, v58
	v_mov_b32_e32 v18, s13
	v_add_co_u32_e32 v24, vcc, s12, v17
	v_addc_co_u32_e32 v25, vcc, v18, v16, vcc
	s_movk_i32 s4, 0x89
	global_load_dwordx4 v[20:23], v[24:25], off offset:432
	global_load_dwordx4 v[16:19], v[24:25], off offset:448
	global_load_dwordx2 v[81:82], v[24:25], off offset:464
	v_mul_lo_u16_sdwa v24, v104, s4 dst_sel:DWORD dst_unused:UNUSED_PAD src0_sel:BYTE_0 src1_sel:DWORD
	v_lshrrev_b16_e32 v99, 13, v24
	v_mul_lo_u16_e32 v24, 60, v99
	v_sub_u16_e32 v24, v104, v24
	v_and_b32_e32 v100, 0xff, v24
	v_mad_u64_u32 v[56:57], s[4:5], v100, 40, s[12:13]
	global_load_dwordx4 v[28:31], v[56:57], off offset:432
	global_load_dwordx4 v[24:27], v[56:57], off offset:448
	global_load_dwordx2 v[83:84], v[56:57], off offset:464
	v_cmp_lt_u16_e32 vcc, 59, v94
	s_waitcnt vmcnt(0) lgkmcnt(0)
	s_barrier
	v_mul_f32_e32 v57, v46, v21
	v_mul_f32_e32 v60, v48, v23
	;; [unrolled: 1-line block ×9, first 2 shown]
	v_fmac_f32_e32 v57, v47, v20
	v_fmac_f32_e32 v60, v49, v22
	v_fma_f32 v47, v50, v16, -v61
	v_fma_f32 v49, v54, v81, -v86
	v_mul_f32_e32 v63, v53, v19
	v_fma_f32 v56, v46, v20, -v56
	v_fma_f32 v46, v48, v22, -v59
	v_fmac_f32_e32 v62, v51, v16
	v_fmac_f32_e32 v85, v53, v18
	v_fmac_f32_e32 v87, v55, v81
	v_add_f32_e32 v59, v47, v49
	v_fma_f32 v48, v52, v18, -v63
	v_sub_f32_e32 v52, v60, v85
	v_add_f32_e32 v53, v45, v60
	v_add_f32_e32 v54, v60, v85
	;; [unrolled: 1-line block ×3, first 2 shown]
	v_sub_f32_e32 v60, v62, v87
	v_add_f32_e32 v61, v57, v62
	v_add_f32_e32 v62, v62, v87
	v_fmac_f32_e32 v56, -0.5, v59
	v_add_f32_e32 v50, v44, v46
	v_add_f32_e32 v51, v46, v48
	v_fmac_f32_e32 v57, -0.5, v62
	v_mov_b32_e32 v62, v56
	v_sub_f32_e32 v46, v46, v48
	v_add_f32_e32 v50, v50, v48
	v_fma_f32 v51, -0.5, v51, v44
	v_fma_f32 v63, -0.5, v54, v45
	v_add_f32_e32 v54, v55, v49
	v_add_f32_e32 v55, v61, v87
	v_fmac_f32_e32 v56, 0xbf5db3d7, v60
	v_fmac_f32_e32 v62, 0x3f5db3d7, v60
	v_mul_f32_e32 v60, v38, v29
	v_mul_f32_e32 v48, v33, v27
	;; [unrolled: 1-line block ×3, first 2 shown]
	v_mov_b32_e32 v59, v51
	v_mul_f32_e32 v44, v39, v29
	v_mul_f32_e32 v88, v34, v84
	v_fmac_f32_e32 v60, v39, v28
	v_fma_f32 v39, v32, v26, -v48
	v_fmac_f32_e32 v87, v33, v26
	v_sub_f32_e32 v32, v47, v49
	v_mov_b32_e32 v33, v57
	v_add_f32_e32 v53, v53, v85
	v_fmac_f32_e32 v51, 0xbf5db3d7, v52
	v_fmac_f32_e32 v59, 0x3f5db3d7, v52
	v_mul_f32_e32 v85, v40, v31
	v_mul_f32_e32 v52, v35, v84
	v_fmac_f32_e32 v88, v35, v83
	v_fmac_f32_e32 v33, 0xbf5db3d7, v32
	v_fmac_f32_e32 v57, 0x3f5db3d7, v32
	v_mul_f32_e32 v35, 0xbf5db3d7, v62
	v_mul_f32_e32 v45, v41, v31
	v_fmac_f32_e32 v85, v41, v30
	v_fma_f32 v41, v34, v83, -v52
	v_mul_f32_e32 v32, 0x3f5db3d7, v33
	v_mul_f32_e32 v34, -0.5, v56
	v_fmac_f32_e32 v35, 0.5, v33
	v_mul_f32_e32 v33, -0.5, v57
	v_mov_b32_e32 v61, v63
	v_fmac_f32_e32 v63, 0x3f5db3d7, v46
	v_fma_f32 v89, v38, v28, -v44
	v_fma_f32 v38, v40, v30, -v45
	v_fmac_f32_e32 v34, 0x3f5db3d7, v57
	v_fmac_f32_e32 v33, 0xbf5db3d7, v56
	;; [unrolled: 1-line block ×3, first 2 shown]
	v_mul_f32_e32 v46, v43, v25
	v_add_f32_e32 v44, v50, v54
	v_fmac_f32_e32 v32, 0.5, v62
	v_add_f32_e32 v48, v51, v34
	v_add_f32_e32 v45, v53, v55
	;; [unrolled: 1-line block ×3, first 2 shown]
	v_sub_f32_e32 v50, v50, v54
	v_sub_f32_e32 v54, v51, v34
	v_sub_f32_e32 v51, v53, v55
	v_sub_f32_e32 v55, v63, v33
	v_add_f32_e32 v33, v38, v39
	v_fma_f32 v40, v42, v24, -v46
	v_add_f32_e32 v46, v59, v32
	v_sub_f32_e32 v52, v59, v32
	v_add_f32_e32 v32, v36, v38
	v_fmac_f32_e32 v36, -0.5, v33
	v_add_f32_e32 v47, v61, v35
	v_sub_f32_e32 v53, v61, v35
	v_sub_f32_e32 v34, v85, v87
	v_mov_b32_e32 v33, v36
	v_add_f32_e32 v35, v85, v87
	v_fmac_f32_e32 v33, 0x3f5db3d7, v34
	v_fmac_f32_e32 v36, 0xbf5db3d7, v34
	v_add_f32_e32 v34, v37, v85
	v_fmac_f32_e32 v37, -0.5, v35
	v_mul_f32_e32 v86, v42, v25
	v_add_f32_e32 v32, v32, v39
	v_sub_f32_e32 v38, v38, v39
	v_mov_b32_e32 v35, v37
	v_add_f32_e32 v39, v40, v41
	v_fmac_f32_e32 v86, v43, v24
	v_fmac_f32_e32 v35, 0xbf5db3d7, v38
	;; [unrolled: 1-line block ×3, first 2 shown]
	v_add_f32_e32 v38, v89, v40
	v_fmac_f32_e32 v89, -0.5, v39
	v_sub_f32_e32 v39, v86, v88
	v_mov_b32_e32 v42, v89
	v_add_f32_e32 v43, v86, v88
	v_fmac_f32_e32 v42, 0x3f5db3d7, v39
	v_fmac_f32_e32 v89, 0xbf5db3d7, v39
	v_add_f32_e32 v39, v60, v86
	v_fmac_f32_e32 v60, -0.5, v43
	v_sub_f32_e32 v40, v40, v41
	v_mov_b32_e32 v43, v60
	v_fmac_f32_e32 v43, 0xbf5db3d7, v40
	v_fmac_f32_e32 v60, 0x3f5db3d7, v40
	v_mul_f32_e32 v40, 0x3f5db3d7, v43
	v_mov_b32_e32 v56, 0x168
	v_fmac_f32_e32 v40, 0.5, v42
	v_mul_f32_e32 v42, 0xbf5db3d7, v42
	v_cndmask_b32_e32 v56, 0, v56, vcc
	v_add_f32_e32 v38, v38, v41
	v_mul_f32_e32 v41, -0.5, v89
	v_fmac_f32_e32 v42, 0.5, v43
	v_mul_f32_e32 v43, -0.5, v60
	v_add_u32_e32 v56, v58, v56
	v_add_f32_e32 v34, v34, v87
	v_add_f32_e32 v39, v39, v88
	v_fmac_f32_e32 v41, 0x3f5db3d7, v60
	v_fmac_f32_e32 v43, 0xbf5db3d7, v89
	v_lshl_add_u32 v103, v56, 3, v95
	v_sub_f32_e32 v85, v32, v38
	v_sub_f32_e32 v87, v33, v40
	;; [unrolled: 1-line block ×6, first 2 shown]
	ds_write2_b64 v103, v[44:45], v[46:47] offset1:60
	ds_write2_b64 v103, v[48:49], v[50:51] offset0:120 offset1:180
	v_add_u32_e32 v44, 0x400, v103
	ds_write2_b64 v44, v[52:53], v[54:55] offset0:112 offset1:172
	s_and_saveexec_b64 s[4:5], s[0:1]
	s_cbranch_execz .LBB0_11
; %bb.10:
	v_add_f32_e32 v38, v32, v38
	v_mul_u32_u24_e32 v32, 0x168, v99
	v_add_u32_e32 v32, v32, v100
	v_add_f32_e32 v35, v35, v42
	v_add_f32_e32 v39, v34, v39
	;; [unrolled: 1-line block ×3, first 2 shown]
	v_lshl_add_u32 v32, v32, 3, v95
	v_add_f32_e32 v37, v37, v43
	v_add_f32_e32 v36, v36, v41
	ds_write2_b64 v32, v[38:39], v[34:35] offset1:60
	ds_write2_b64 v32, v[36:37], v[85:86] offset0:120 offset1:180
	v_add_u32_e32 v32, 0x400, v32
	ds_write2_b64 v32, v[87:88], v[89:90] offset0:112 offset1:172
.LBB0_11:
	s_or_b64 exec, exec, s[4:5]
	v_add_u32_e32 v32, 0x400, v93
	s_waitcnt lgkmcnt(0)
	s_barrier
	ds_read2_b64 v[48:51], v32 offset0:88 offset1:232
	v_add_u32_e32 v32, 0x1400, v93
	ds_read2_b64 v[60:63], v32 offset0:80 offset1:188
	v_add_u32_e32 v32, 0xc00, v93
	ds_read2_b64 v[52:55], v93 offset1:108
	ds_read2_b64 v[56:59], v32 offset0:84 offset1:192
	ds_read_b64 v[91:92], v93 offset:7488
	v_cmp_gt_u16_e64 s[4:5], 36, v94
	s_and_saveexec_b64 s[16:17], s[4:5]
	s_cbranch_execz .LBB0_13
; %bb.12:
	ds_read_b64 v[85:86], v93 offset:2592
	ds_read_b64 v[87:88], v93 offset:5472
	;; [unrolled: 1-line block ×3, first 2 shown]
.LBB0_13:
	s_or_b64 exec, exec, s[16:17]
	v_lshlrev_b32_e32 v32, 4, v94
	v_lshlrev_b32_e32 v33, 4, v104
	global_load_dwordx4 v[36:39], v32, s[12:13] offset:2832
	global_load_dwordx4 v[40:43], v33, s[12:13] offset:2832
	v_add_u32_e32 v32, 0xd80, v32
	global_load_dwordx4 v[44:47], v32, s[12:13] offset:2832
	v_add_co_u32_e32 v32, vcc, 0x144, v94
	s_movk_i32 s14, 0xffdc
	v_addc_co_u32_e64 v33, s[16:17], 0, 0, vcc
	v_add_co_u32_e32 v35, vcc, s14, v94
	v_addc_co_u32_e64 v104, s[16:17], 0, -1, vcc
	v_cndmask_b32_e64 v33, v104, v33, s[4:5]
	v_cndmask_b32_e64 v32, v35, v32, s[4:5]
	v_lshlrev_b64 v[32:33], 4, v[32:33]
	v_mov_b32_e32 v34, s13
	v_add_co_u32_e32 v32, vcc, s12, v32
	v_addc_co_u32_e32 v33, vcc, v34, v33, vcc
	global_load_dwordx4 v[32:35], v[32:33], off offset:2832
	v_lshl_add_u32 v96, v101, 3, v96
	s_waitcnt vmcnt(3) lgkmcnt(4)
	v_mul_f32_e32 v105, v50, v37
	s_waitcnt lgkmcnt(3)
	v_mul_f32_e32 v107, v60, v39
	v_mul_f32_e32 v104, v51, v37
	;; [unrolled: 1-line block ×3, first 2 shown]
	v_fmac_f32_e32 v105, v51, v36
	v_fmac_f32_e32 v107, v61, v38
	s_waitcnt vmcnt(1) lgkmcnt(0)
	v_mul_f32_e32 v61, v92, v47
	v_mul_f32_e32 v108, v57, v41
	v_fma_f32 v50, v50, v36, -v104
	v_fma_f32 v51, v60, v38, -v106
	v_mul_f32_e32 v60, v59, v45
	v_mul_f32_e32 v104, v58, v45
	;; [unrolled: 1-line block ×3, first 2 shown]
	v_fma_f32 v91, v91, v46, -v61
	v_add_f32_e32 v61, v105, v107
	v_mul_f32_e32 v109, v56, v41
	v_mul_f32_e32 v110, v63, v43
	;; [unrolled: 1-line block ×3, first 2 shown]
	v_fma_f32 v56, v56, v40, -v108
	v_fma_f32 v108, v58, v44, -v60
	v_fmac_f32_e32 v104, v59, v44
	v_add_f32_e32 v59, v50, v51
	v_add_f32_e32 v60, v53, v105
	v_fma_f32 v53, -0.5, v61, v53
	v_fmac_f32_e32 v109, v57, v40
	v_fma_f32 v57, v62, v42, -v110
	v_fmac_f32_e32 v111, v63, v42
	v_add_f32_e32 v58, v52, v50
	v_sub_f32_e32 v63, v50, v51
	v_fma_f32 v52, -0.5, v59, v52
	v_mov_b32_e32 v59, v53
	v_fmac_f32_e32 v106, v92, v46
	v_sub_f32_e32 v62, v105, v107
	v_add_f32_e32 v92, v54, v56
	v_add_f32_e32 v105, v56, v57
	;; [unrolled: 1-line block ×3, first 2 shown]
	v_mov_b32_e32 v58, v52
	v_fmac_f32_e32 v53, 0x3f5db3d7, v63
	v_fmac_f32_e32 v59, 0xbf5db3d7, v63
	v_add_f32_e32 v63, v108, v91
	v_sub_f32_e32 v113, v56, v57
	v_add_f32_e32 v56, v92, v57
	v_fma_f32 v54, -0.5, v105, v54
	v_fmac_f32_e32 v52, 0xbf5db3d7, v62
	s_waitcnt vmcnt(0)
	v_mul_f32_e32 v92, v88, v33
	v_mul_f32_e32 v105, v87, v33
	v_fmac_f32_e32 v58, 0x3f5db3d7, v62
	v_add_f32_e32 v62, v48, v108
	v_fma_f32 v48, -0.5, v63, v48
	v_sub_f32_e32 v110, v109, v111
	v_add_f32_e32 v112, v55, v109
	v_add_f32_e32 v109, v109, v111
	;; [unrolled: 1-line block ×3, first 2 shown]
	v_mul_f32_e32 v107, v90, v35
	v_fma_f32 v92, v87, v32, -v92
	v_fmac_f32_e32 v105, v88, v32
	v_sub_f32_e32 v63, v104, v106
	v_mov_b32_e32 v87, v48
	v_add_f32_e32 v88, v104, v106
	v_fmac_f32_e32 v55, -0.5, v109
	v_mul_f32_e32 v109, v89, v35
	v_fma_f32 v107, v89, v34, -v107
	v_fmac_f32_e32 v87, 0x3f5db3d7, v63
	v_fmac_f32_e32 v48, 0xbf5db3d7, v63
	v_add_f32_e32 v63, v49, v104
	v_fmac_f32_e32 v49, -0.5, v88
	v_fmac_f32_e32 v109, v90, v34
	v_sub_f32_e32 v89, v108, v91
	v_mov_b32_e32 v88, v49
	v_add_f32_e32 v90, v92, v107
	v_fmac_f32_e32 v88, 0xbf5db3d7, v89
	v_fmac_f32_e32 v49, 0x3f5db3d7, v89
	v_add_f32_e32 v89, v85, v92
	v_fmac_f32_e32 v85, -0.5, v90
	v_add_f32_e32 v62, v62, v91
	v_sub_f32_e32 v90, v105, v109
	v_mov_b32_e32 v91, v85
	v_add_f32_e32 v104, v105, v109
	v_fmac_f32_e32 v91, 0x3f5db3d7, v90
	v_fmac_f32_e32 v85, 0xbf5db3d7, v90
	v_add_f32_e32 v90, v86, v105
	v_fmac_f32_e32 v86, -0.5, v104
	v_sub_f32_e32 v104, v92, v107
	v_mov_b32_e32 v92, v86
	v_mov_b32_e32 v60, v54
	;; [unrolled: 1-line block ×3, first 2 shown]
	v_add_f32_e32 v63, v63, v106
	v_add_f32_e32 v89, v89, v107
	;; [unrolled: 1-line block ×3, first 2 shown]
	v_fmac_f32_e32 v92, 0xbf5db3d7, v104
	v_fmac_f32_e32 v86, 0x3f5db3d7, v104
	v_add_f32_e32 v57, v112, v111
	v_fmac_f32_e32 v54, 0xbf5db3d7, v110
	v_fmac_f32_e32 v60, 0x3f5db3d7, v110
	;; [unrolled: 1-line block ×4, first 2 shown]
	ds_write_b64 v93, v[58:59] offset:2880
	ds_write_b64 v93, v[52:53] offset:5760
	ds_write2_b64 v93, v[50:51], v[56:57] offset1:108
	ds_write_b64 v93, v[60:61] offset:3744
	ds_write_b64 v93, v[54:55] offset:6624
	ds_write_b64 v93, v[62:63] offset:1728
	ds_write_b64 v96, v[87:88] offset:4608
	ds_write_b64 v96, v[48:49] offset:7488
	s_and_saveexec_b64 s[12:13], s[4:5]
	s_cbranch_execz .LBB0_15
; %bb.14:
	ds_write_b64 v93, v[89:90] offset:2592
	ds_write_b64 v93, v[91:92] offset:5472
	;; [unrolled: 1-line block ×3, first 2 shown]
.LBB0_15:
	s_or_b64 exec, exec, s[12:13]
	v_mov_b32_e32 v50, s15
	v_addc_co_u32_e64 v54, vcc, 0, v50, s[2:3]
	v_add_co_u32_e32 v50, vcc, 0x21c0, v64
	v_addc_co_u32_e32 v51, vcc, 0, v54, vcc
	v_add_co_u32_e32 v52, vcc, 0x2000, v64
	v_addc_co_u32_e32 v53, vcc, 0, v54, vcc
	s_movk_i32 s2, 0x3000
	s_waitcnt lgkmcnt(0)
	s_barrier
	global_load_dwordx2 v[55:56], v[52:53], off offset:448
	global_load_dwordx2 v[59:60], v[50:51], off offset:1440
	v_add_co_u32_e32 v52, vcc, s2, v64
	v_addc_co_u32_e32 v53, vcc, 0, v54, vcc
	global_load_dwordx2 v[116:117], v[52:53], off offset:672
	global_load_dwordx2 v[118:119], v[50:51], off offset:2880
	;; [unrolled: 1-line block ×4, first 2 shown]
	ds_read2_b64 v[104:107], v93 offset1:180
	v_add_u32_e32 v54, 0xa00, v93
	v_add_u32_e32 v58, 0x1600, v93
	ds_read2_b64 v[108:111], v54 offset0:40 offset1:220
	ds_read2_b64 v[112:115], v58 offset0:16 offset1:196
	s_waitcnt vmcnt(5) lgkmcnt(2)
	v_mul_f32_e32 v52, v105, v56
	v_mul_f32_e32 v53, v104, v56
	s_waitcnt vmcnt(4)
	v_mul_f32_e32 v57, v107, v60
	v_mul_f32_e32 v56, v106, v60
	s_waitcnt vmcnt(2) lgkmcnt(1)
	v_mul_f32_e32 v61, v109, v119
	v_mul_f32_e32 v60, v108, v119
	v_mul_f32_e32 v101, v111, v117
	v_mul_f32_e32 v119, v110, v117
	s_waitcnt vmcnt(1) lgkmcnt(0)
	v_mul_f32_e32 v124, v113, v121
	v_mul_f32_e32 v117, v112, v121
	s_waitcnt vmcnt(0)
	v_mul_f32_e32 v125, v115, v123
	v_mul_f32_e32 v121, v114, v123
	v_fma_f32 v52, v104, v55, -v52
	v_fmac_f32_e32 v53, v105, v55
	v_fma_f32 v55, v106, v59, -v57
	v_fmac_f32_e32 v56, v107, v59
	;; [unrolled: 2-line block ×6, first 2 shown]
	ds_write2_b64 v93, v[52:53], v[55:56] offset1:180
	ds_write2_b64 v54, v[59:60], v[118:119] offset0:40 offset1:220
	ds_write2_b64 v58, v[116:117], v[120:121] offset0:16 offset1:196
	s_and_saveexec_b64 s[2:3], s[0:1]
	s_cbranch_execz .LBB0_17
; %bb.16:
	s_movk_i32 s12, 0x1000
	global_load_dwordx2 v[55:56], v[50:51], off offset:864
	global_load_dwordx2 v[59:60], v[50:51], off offset:2304
	;; [unrolled: 1-line block ×3, first 2 shown]
	v_add_co_u32_e32 v50, vcc, s12, v50
	v_addc_co_u32_e32 v51, vcc, 0, v51, vcc
	global_load_dwordx2 v[114:115], v[50:51], off offset:1088
	global_load_dwordx2 v[116:117], v[50:51], off offset:2528
	;; [unrolled: 1-line block ×3, first 2 shown]
	v_add_u32_e32 v101, 0x200, v93
	ds_read2_b64 v[50:53], v101 offset0:44 offset1:224
	v_add_u32_e32 v122, 0xe00, v93
	v_add_u32_e32 v123, 0x1800, v93
	ds_read2_b64 v[104:107], v122 offset0:20 offset1:200
	ds_read2_b64 v[108:111], v123 offset0:60 offset1:240
	s_waitcnt vmcnt(5) lgkmcnt(2)
	v_mul_f32_e32 v120, v51, v56
	v_mul_f32_e32 v57, v50, v56
	s_waitcnt vmcnt(4)
	v_mul_f32_e32 v124, v53, v60
	v_mul_f32_e32 v61, v52, v60
	s_waitcnt vmcnt(3) lgkmcnt(1)
	v_mul_f32_e32 v125, v105, v113
	v_mul_f32_e32 v121, v104, v113
	v_fma_f32 v56, v50, v55, -v120
	v_fmac_f32_e32 v57, v51, v55
	v_fma_f32 v60, v52, v59, -v124
	v_fmac_f32_e32 v61, v53, v59
	s_waitcnt vmcnt(2)
	v_mul_f32_e32 v50, v107, v115
	v_mul_f32_e32 v51, v106, v115
	v_fma_f32 v120, v104, v112, -v125
	v_fmac_f32_e32 v121, v105, v112
	ds_write2_b64 v101, v[56:57], v[60:61] offset0:44 offset1:224
	s_waitcnt vmcnt(1) lgkmcnt(1)
	v_mul_f32_e32 v52, v109, v117
	v_mul_f32_e32 v53, v108, v117
	s_waitcnt vmcnt(0)
	v_mul_f32_e32 v55, v111, v119
	v_mul_f32_e32 v56, v110, v119
	v_fma_f32 v50, v106, v114, -v50
	v_fmac_f32_e32 v51, v107, v114
	v_fma_f32 v52, v108, v116, -v52
	v_fmac_f32_e32 v53, v109, v116
	;; [unrolled: 2-line block ×3, first 2 shown]
	ds_write2_b64 v122, v[120:121], v[50:51] offset0:20 offset1:200
	ds_write2_b64 v123, v[52:53], v[55:56] offset0:60 offset1:240
.LBB0_17:
	s_or_b64 exec, exec, s[2:3]
	s_waitcnt lgkmcnt(0)
	s_barrier
	ds_read2_b64 v[50:53], v93 offset1:180
	ds_read2_b64 v[54:57], v54 offset0:40 offset1:220
	ds_read2_b64 v[58:61], v58 offset0:16 offset1:196
	s_and_saveexec_b64 s[2:3], s[0:1]
	s_cbranch_execz .LBB0_19
; %bb.18:
	v_lshl_add_u32 v85, v94, 3, v95
	ds_read_b64 v[62:63], v93 offset:864
	ds_read_b64 v[48:49], v93 offset:3744
	ds_read_b64 v[87:88], v85 offset:2304
	ds_read_b64 v[91:92], v93 offset:6624
	ds_read_b64 v[89:90], v85 offset:5184
	ds_read_b64 v[85:86], v85 offset:8064
.LBB0_19:
	s_or_b64 exec, exec, s[2:3]
	s_waitcnt lgkmcnt(0)
	v_add_f32_e32 v104, v54, v58
	v_add_f32_e32 v101, v50, v54
	v_fma_f32 v50, -0.5, v104, v50
	v_sub_f32_e32 v104, v55, v59
	v_mov_b32_e32 v111, v50
	v_fmac_f32_e32 v111, 0xbf5db3d7, v104
	v_fmac_f32_e32 v50, 0x3f5db3d7, v104
	v_add_f32_e32 v104, v51, v55
	v_add_f32_e32 v55, v55, v59
	v_fma_f32 v51, -0.5, v55, v51
	v_add_f32_e32 v101, v101, v58
	v_sub_f32_e32 v54, v54, v58
	v_mov_b32_e32 v55, v51
	v_add_f32_e32 v58, v56, v60
	v_fmac_f32_e32 v55, 0x3f5db3d7, v54
	v_fmac_f32_e32 v51, 0xbf5db3d7, v54
	v_add_f32_e32 v54, v52, v56
	v_fma_f32 v52, -0.5, v58, v52
	v_add_f32_e32 v113, v104, v59
	v_sub_f32_e32 v58, v57, v61
	v_mov_b32_e32 v59, v52
	v_fmac_f32_e32 v59, 0xbf5db3d7, v58
	v_fmac_f32_e32 v52, 0x3f5db3d7, v58
	v_add_f32_e32 v58, v53, v57
	v_add_f32_e32 v57, v57, v61
	v_fmac_f32_e32 v53, -0.5, v57
	v_sub_f32_e32 v56, v56, v60
	v_mov_b32_e32 v57, v53
	v_fmac_f32_e32 v53, 0xbf5db3d7, v56
	v_add_f32_e32 v54, v54, v60
	v_mul_f32_e32 v60, 0xbf5db3d7, v53
	v_fmac_f32_e32 v57, 0x3f5db3d7, v56
	v_fmac_f32_e32 v60, -0.5, v52
	v_mul_f32_e32 v56, 0xbf5db3d7, v57
	v_add_f32_e32 v108, v50, v60
	v_mul_f32_e32 v57, 0.5, v57
	v_sub_f32_e32 v114, v50, v60
	v_add_f32_e32 v50, v48, v91
	v_add_f32_e32 v58, v58, v61
	;; [unrolled: 1-line block ×3, first 2 shown]
	v_fmac_f32_e32 v56, 0.5, v59
	v_fmac_f32_e32 v57, 0x3f5db3d7, v59
	v_sub_f32_e32 v110, v101, v54
	v_fma_f32 v54, -0.5, v50, v62
	v_add_f32_e32 v106, v111, v56
	v_add_f32_e32 v105, v113, v58
	;; [unrolled: 1-line block ×3, first 2 shown]
	v_sub_f32_e32 v112, v111, v56
	v_sub_f32_e32 v111, v113, v58
	;; [unrolled: 1-line block ×4, first 2 shown]
	v_mov_b32_e32 v55, v54
	v_fmac_f32_e32 v55, 0xbf5db3d7, v50
	v_fmac_f32_e32 v54, 0x3f5db3d7, v50
	v_add_f32_e32 v50, v49, v92
	v_fma_f32 v56, -0.5, v50, v63
	v_sub_f32_e32 v50, v48, v91
	v_mov_b32_e32 v57, v56
	v_mul_f32_e32 v53, -0.5, v53
	v_fmac_f32_e32 v57, 0x3f5db3d7, v50
	v_fmac_f32_e32 v56, 0xbf5db3d7, v50
	v_add_f32_e32 v50, v89, v85
	v_fmac_f32_e32 v53, 0x3f5db3d7, v52
	v_fma_f32 v50, -0.5, v50, v87
	v_add_f32_e32 v109, v51, v53
	v_sub_f32_e32 v115, v51, v53
	v_sub_f32_e32 v51, v90, v86
	v_mov_b32_e32 v52, v50
	v_fmac_f32_e32 v52, 0xbf5db3d7, v51
	v_fmac_f32_e32 v50, 0x3f5db3d7, v51
	v_add_f32_e32 v51, v90, v86
	v_fma_f32 v51, -0.5, v51, v88
	v_sub_f32_e32 v53, v89, v85
	v_mov_b32_e32 v60, v51
	v_fmac_f32_e32 v60, 0x3f5db3d7, v53
	v_fmac_f32_e32 v51, 0xbf5db3d7, v53
	v_mul_f32_e32 v58, 0xbf5db3d7, v60
	v_mul_f32_e32 v59, 0xbf5db3d7, v51
	v_mul_f32_e32 v60, 0.5, v60
	v_mul_f32_e32 v61, -0.5, v51
	v_fmac_f32_e32 v58, 0.5, v52
	v_fmac_f32_e32 v59, -0.5, v50
	v_fmac_f32_e32 v60, 0x3f5db3d7, v52
	v_fmac_f32_e32 v61, 0x3f5db3d7, v50
	v_sub_f32_e32 v50, v55, v58
	v_sub_f32_e32 v52, v54, v59
	;; [unrolled: 1-line block ×4, first 2 shown]
	s_barrier
	ds_write_b128 v98, v[104:107]
	ds_write_b128 v98, v[108:111] offset:16
	ds_write_b128 v98, v[112:115] offset:32
	s_and_saveexec_b64 s[2:3], s[0:1]
	s_cbranch_execz .LBB0_21
; %bb.20:
	v_add_f32_e32 v49, v63, v49
	v_add_f32_e32 v63, v88, v90
	;; [unrolled: 1-line block ×8, first 2 shown]
	v_sub_f32_e32 v63, v49, v86
	v_sub_f32_e32 v62, v48, v85
	v_add_f32_e32 v88, v57, v60
	v_add_f32_e32 v86, v49, v86
	;; [unrolled: 1-line block ×4, first 2 shown]
	v_lshl_add_u32 v48, v97, 3, v95
	v_add_f32_e32 v61, v56, v61
	v_add_f32_e32 v60, v54, v59
	ds_write_b128 v48, v[85:88]
	ds_write_b128 v48, v[60:63] offset:16
	ds_write_b128 v48, v[50:53] offset:32
.LBB0_21:
	s_or_b64 exec, exec, s[2:3]
	s_waitcnt lgkmcnt(0)
	s_barrier
	ds_read2_b64 v[54:57], v93 offset1:108
	v_add_u32_e32 v48, 0x400, v93
	ds_read2_b64 v[58:61], v48 offset0:88 offset1:196
	v_add_u32_e32 v48, 0xc00, v93
	ds_read2_b64 v[85:88], v48 offset0:48 offset1:156
	;; [unrolled: 2-line block ×3, first 2 shown]
	s_waitcnt lgkmcnt(3)
	v_mul_f32_e32 v49, v13, v57
	v_mul_f32_e32 v13, v13, v56
	v_add_u32_e32 v48, 0x1800, v93
	v_fmac_f32_e32 v49, v12, v56
	v_fma_f32 v56, v12, v57, -v13
	s_waitcnt lgkmcnt(2)
	v_mul_f32_e32 v12, v15, v59
	v_mul_f32_e32 v13, v15, v58
	ds_read2_b64 v[104:107], v48 offset0:96 offset1:204
	v_fmac_f32_e32 v12, v14, v58
	v_fma_f32 v13, v14, v59, -v13
	v_mul_f32_e32 v14, v9, v61
	v_mul_f32_e32 v9, v9, v60
	v_fmac_f32_e32 v14, v8, v60
	v_fma_f32 v8, v8, v61, -v9
	s_waitcnt lgkmcnt(2)
	v_mul_f32_e32 v9, v11, v86
	v_mul_f32_e32 v11, v11, v85
	v_fmac_f32_e32 v9, v10, v85
	v_fma_f32 v10, v10, v86, -v11
	v_mul_f32_e32 v11, v5, v88
	v_mul_f32_e32 v5, v5, v87
	v_fmac_f32_e32 v11, v4, v87
	v_fma_f32 v4, v4, v88, -v5
	s_waitcnt lgkmcnt(1)
	v_mul_f32_e32 v5, v7, v90
	v_mul_f32_e32 v7, v7, v89
	;; [unrolled: 9-line block ×3, first 2 shown]
	v_add_f32_e32 v58, v9, v5
	v_fmac_f32_e32 v1, v2, v104
	v_fma_f32 v2, v2, v105, -v3
	v_fma_f32 v58, -0.5, v58, v54
	v_sub_f32_e32 v59, v13, v2
	v_mov_b32_e32 v60, v58
	v_fmac_f32_e32 v60, 0xbf737871, v59
	v_sub_f32_e32 v61, v10, v6
	v_sub_f32_e32 v62, v12, v9
	;; [unrolled: 1-line block ×3, first 2 shown]
	v_fmac_f32_e32 v58, 0x3f737871, v59
	v_fmac_f32_e32 v60, 0xbf167918, v61
	v_add_f32_e32 v62, v62, v63
	v_fmac_f32_e32 v58, 0x3f167918, v61
	v_fmac_f32_e32 v60, 0x3e9e377a, v62
	;; [unrolled: 1-line block ×3, first 2 shown]
	v_add_f32_e32 v62, v12, v1
	v_fma_f32 v62, -0.5, v62, v54
	v_mul_f32_e32 v3, v80, v107
	v_mul_f32_e32 v15, v80, v106
	v_mov_b32_e32 v63, v62
	v_fmac_f32_e32 v3, v79, v106
	v_fma_f32 v15, v79, v107, -v15
	v_add_f32_e32 v57, v54, v12
	v_fmac_f32_e32 v63, 0x3f737871, v61
	v_sub_f32_e32 v54, v9, v12
	v_sub_f32_e32 v79, v5, v1
	v_fmac_f32_e32 v62, 0xbf737871, v61
	v_fmac_f32_e32 v63, 0xbf167918, v59
	v_add_f32_e32 v54, v54, v79
	v_fmac_f32_e32 v62, 0x3f167918, v59
	v_fmac_f32_e32 v63, 0x3e9e377a, v54
	;; [unrolled: 1-line block ×3, first 2 shown]
	v_add_f32_e32 v54, v55, v13
	v_add_f32_e32 v54, v54, v10
	;; [unrolled: 1-line block ×7, first 2 shown]
	v_fma_f32 v61, -0.5, v54, v55
	v_add_f32_e32 v57, v57, v1
	v_sub_f32_e32 v1, v12, v1
	v_mov_b32_e32 v79, v61
	v_fmac_f32_e32 v79, 0x3f737871, v1
	v_sub_f32_e32 v5, v9, v5
	v_sub_f32_e32 v9, v13, v10
	;; [unrolled: 1-line block ×3, first 2 shown]
	v_fmac_f32_e32 v61, 0xbf737871, v1
	v_fmac_f32_e32 v79, 0x3f167918, v5
	v_add_f32_e32 v9, v9, v12
	v_fmac_f32_e32 v61, 0xbf167918, v5
	v_fmac_f32_e32 v79, 0x3e9e377a, v9
	;; [unrolled: 1-line block ×3, first 2 shown]
	v_add_f32_e32 v9, v13, v2
	v_fma_f32 v80, -0.5, v9, v55
	v_mov_b32_e32 v85, v80
	v_fmac_f32_e32 v85, 0xbf737871, v5
	v_sub_f32_e32 v9, v10, v13
	v_sub_f32_e32 v2, v6, v2
	v_fmac_f32_e32 v80, 0x3f737871, v5
	v_fmac_f32_e32 v85, 0x3f167918, v1
	v_add_f32_e32 v2, v9, v2
	v_fmac_f32_e32 v80, 0xbf167918, v1
	v_fmac_f32_e32 v85, 0x3e9e377a, v2
	;; [unrolled: 1-line block ×3, first 2 shown]
	v_add_f32_e32 v2, v11, v7
	v_fma_f32 v2, -0.5, v2, v49
	v_sub_f32_e32 v5, v8, v15
	v_mov_b32_e32 v6, v2
	v_fmac_f32_e32 v6, 0xbf737871, v5
	v_sub_f32_e32 v9, v4, v0
	v_sub_f32_e32 v10, v14, v11
	;; [unrolled: 1-line block ×3, first 2 shown]
	v_fmac_f32_e32 v2, 0x3f737871, v5
	v_fmac_f32_e32 v6, 0xbf167918, v9
	v_add_f32_e32 v10, v10, v12
	v_fmac_f32_e32 v2, 0x3f167918, v9
	v_fmac_f32_e32 v6, 0x3e9e377a, v10
	;; [unrolled: 1-line block ×3, first 2 shown]
	v_add_f32_e32 v10, v14, v3
	v_add_f32_e32 v1, v49, v14
	v_fmac_f32_e32 v49, -0.5, v10
	v_mov_b32_e32 v13, v49
	v_add_f32_e32 v1, v1, v11
	v_fmac_f32_e32 v13, 0x3f737871, v9
	v_fmac_f32_e32 v49, 0xbf737871, v9
	v_add_f32_e32 v9, v4, v0
	v_add_f32_e32 v1, v1, v7
	v_sub_f32_e32 v10, v11, v14
	v_sub_f32_e32 v12, v7, v3
	v_fma_f32 v55, -0.5, v9, v56
	v_add_f32_e32 v1, v1, v3
	v_fmac_f32_e32 v13, 0xbf167918, v5
	v_add_f32_e32 v10, v10, v12
	v_fmac_f32_e32 v49, 0x3f167918, v5
	v_sub_f32_e32 v3, v14, v3
	v_mov_b32_e32 v86, v55
	v_fmac_f32_e32 v13, 0x3e9e377a, v10
	v_fmac_f32_e32 v49, 0x3e9e377a, v10
	;; [unrolled: 1-line block ×3, first 2 shown]
	v_sub_f32_e32 v7, v11, v7
	v_sub_f32_e32 v9, v8, v4
	;; [unrolled: 1-line block ×3, first 2 shown]
	v_fmac_f32_e32 v55, 0xbf737871, v3
	v_fmac_f32_e32 v86, 0x3f167918, v7
	v_add_f32_e32 v9, v9, v10
	v_fmac_f32_e32 v55, 0xbf167918, v7
	v_fmac_f32_e32 v86, 0x3e9e377a, v9
	;; [unrolled: 1-line block ×3, first 2 shown]
	v_add_f32_e32 v9, v8, v15
	v_add_f32_e32 v5, v56, v8
	v_fmac_f32_e32 v56, -0.5, v9
	v_add_f32_e32 v5, v5, v4
	v_mov_b32_e32 v87, v56
	v_add_f32_e32 v5, v5, v0
	v_fmac_f32_e32 v87, 0xbf737871, v7
	v_sub_f32_e32 v4, v4, v8
	v_sub_f32_e32 v0, v0, v15
	v_fmac_f32_e32 v56, 0x3f737871, v7
	v_fmac_f32_e32 v87, 0x3f167918, v3
	v_add_f32_e32 v0, v4, v0
	v_fmac_f32_e32 v56, 0xbf167918, v3
	v_fmac_f32_e32 v87, 0x3e9e377a, v0
	;; [unrolled: 1-line block ×3, first 2 shown]
	v_mul_f32_e32 v0, 0xbf167918, v86
	v_mul_f32_e32 v3, 0xbf737871, v87
	;; [unrolled: 1-line block ×5, first 2 shown]
	v_add_f32_e32 v5, v5, v15
	v_fmac_f32_e32 v0, 0x3f4f1bbd, v6
	v_fmac_f32_e32 v3, 0x3e9e377a, v13
	;; [unrolled: 1-line block ×3, first 2 shown]
	v_mul_f32_e32 v7, 0xbf167918, v55
	v_fmac_f32_e32 v86, 0x3f167918, v6
	v_mul_f32_e32 v87, 0x3e9e377a, v87
	v_fmac_f32_e32 v88, 0x3f737871, v49
	v_mul_f32_e32 v49, 0xbf4f1bbd, v55
	v_add_f32_e32 v8, v57, v1
	v_add_f32_e32 v10, v60, v0
	;; [unrolled: 1-line block ×3, first 2 shown]
	v_fmac_f32_e32 v7, 0xbf4f1bbd, v2
	v_add_f32_e32 v9, v59, v5
	v_add_f32_e32 v11, v79, v86
	v_fmac_f32_e32 v87, 0x3f737871, v13
	v_fmac_f32_e32 v49, 0x3f167918, v2
	v_add_f32_e32 v14, v62, v4
	v_add_f32_e32 v54, v58, v7
	;; [unrolled: 1-line block ×5, first 2 shown]
	v_sub_f32_e32 v56, v57, v1
	v_sub_f32_e32 v0, v60, v0
	;; [unrolled: 1-line block ×10, first 2 shown]
	s_barrier
	ds_write2_b64 v102, v[8:9], v[10:11] offset1:6
	ds_write2_b64 v102, v[12:13], v[14:15] offset0:12 offset1:18
	ds_write2_b64 v102, v[54:55], v[56:57] offset0:24 offset1:30
	;; [unrolled: 1-line block ×4, first 2 shown]
	v_add_u32_e32 v12, 0xa00, v93
	s_waitcnt lgkmcnt(0)
	s_barrier
	ds_read2_b64 v[54:57], v12 offset0:40 offset1:220
	v_add_u32_e32 v12, 0x1600, v93
	ds_read2_b64 v[8:11], v93 offset1:180
	ds_read2_b64 v[12:15], v12 offset0:16 offset1:196
	s_and_saveexec_b64 s[2:3], s[0:1]
	s_cbranch_execz .LBB0_23
; %bb.22:
	v_add_u32_e32 v0, 0x200, v93
	v_add_u32_e32 v4, 0xe00, v93
	ds_read2_b64 v[0:3], v0 offset0:44 offset1:224
	ds_read2_b64 v[4:7], v4 offset0:20 offset1:200
	;; [unrolled: 1-line block ×3, first 2 shown]
.LBB0_23:
	s_or_b64 exec, exec, s[2:3]
	s_waitcnt lgkmcnt(1)
	v_mul_f32_e32 v48, v21, v11
	v_fmac_f32_e32 v48, v20, v10
	v_mul_f32_e32 v10, v21, v10
	v_mul_f32_e32 v21, v17, v57
	;; [unrolled: 1-line block ×3, first 2 shown]
	v_fmac_f32_e32 v21, v16, v56
	v_fma_f32 v16, v16, v57, -v17
	s_waitcnt lgkmcnt(0)
	v_mul_f32_e32 v17, v19, v13
	v_fmac_f32_e32 v17, v18, v12
	v_mul_f32_e32 v12, v19, v12
	v_fma_f32 v12, v18, v13, -v12
	v_mul_f32_e32 v18, v29, v3
	v_fmac_f32_e32 v18, v28, v2
	v_mul_f32_e32 v2, v29, v2
	v_fma_f32 v10, v20, v11, -v10
	v_mul_f32_e32 v11, v23, v55
	v_fma_f32 v19, v28, v3, -v2
	v_mul_f32_e32 v2, v31, v4
	v_fmac_f32_e32 v11, v22, v54
	v_mul_f32_e32 v49, v31, v5
	v_fma_f32 v5, v30, v5, -v2
	v_mul_f32_e32 v2, v25, v6
	v_mul_f32_e32 v20, v23, v54
	v_fma_f32 v31, v24, v7, -v2
	v_mul_f32_e32 v2, v27, v50
	v_add_f32_e32 v3, v11, v17
	v_fma_f32 v20, v22, v55, -v20
	v_fmac_f32_e32 v49, v30, v4
	v_mul_f32_e32 v30, v25, v7
	v_fma_f32 v7, v26, v51, -v2
	v_mul_f32_e32 v2, v84, v52
	v_fma_f32 v3, -0.5, v3, v8
	v_fmac_f32_e32 v30, v24, v6
	v_mul_f32_e32 v6, v27, v51
	v_fma_f32 v51, v83, v53, -v2
	v_add_f32_e32 v2, v8, v11
	v_sub_f32_e32 v4, v20, v12
	v_mov_b32_e32 v8, v3
	v_fmac_f32_e32 v8, 0xbf5db3d7, v4
	v_fmac_f32_e32 v3, 0x3f5db3d7, v4
	v_add_f32_e32 v4, v9, v20
	v_mul_f32_e32 v13, v82, v15
	v_add_f32_e32 v4, v4, v12
	v_add_f32_e32 v12, v20, v12
	v_fmac_f32_e32 v13, v81, v14
	v_fma_f32 v9, -0.5, v12, v9
	v_mul_f32_e32 v14, v82, v14
	v_add_f32_e32 v2, v2, v17
	v_sub_f32_e32 v11, v11, v17
	v_mov_b32_e32 v17, v9
	v_add_f32_e32 v12, v21, v13
	v_fma_f32 v14, v81, v15, -v14
	v_fmac_f32_e32 v17, 0x3f5db3d7, v11
	v_fmac_f32_e32 v9, 0xbf5db3d7, v11
	v_add_f32_e32 v11, v48, v21
	v_fmac_f32_e32 v48, -0.5, v12
	v_sub_f32_e32 v12, v16, v14
	v_mov_b32_e32 v15, v48
	v_fmac_f32_e32 v15, 0xbf5db3d7, v12
	v_fmac_f32_e32 v48, 0x3f5db3d7, v12
	v_add_f32_e32 v12, v10, v16
	v_add_f32_e32 v20, v12, v14
	;; [unrolled: 1-line block ×3, first 2 shown]
	v_fmac_f32_e32 v10, -0.5, v12
	v_sub_f32_e32 v12, v21, v13
	v_mov_b32_e32 v16, v10
	v_fmac_f32_e32 v10, 0xbf5db3d7, v12
	v_mul_f32_e32 v25, 0xbf5db3d7, v10
	v_fmac_f32_e32 v6, v26, v50
	v_fmac_f32_e32 v25, -0.5, v48
	v_add_f32_e32 v11, v11, v13
	v_add_f32_e32 v22, v3, v25
	v_sub_f32_e32 v28, v3, v25
	v_add_f32_e32 v3, v49, v6
	v_fmac_f32_e32 v16, 0x3f5db3d7, v12
	v_add_f32_e32 v12, v2, v11
	v_sub_f32_e32 v24, v2, v11
	v_add_f32_e32 v2, v0, v49
	v_fmac_f32_e32 v0, -0.5, v3
	v_add_f32_e32 v13, v4, v20
	v_sub_f32_e32 v25, v4, v20
	v_sub_f32_e32 v4, v5, v7
	v_mov_b32_e32 v3, v0
	v_mul_f32_e32 v50, v84, v53
	v_fmac_f32_e32 v3, 0xbf5db3d7, v4
	v_fmac_f32_e32 v0, 0x3f5db3d7, v4
	v_add_f32_e32 v4, v1, v5
	v_add_f32_e32 v5, v5, v7
	v_fmac_f32_e32 v50, v83, v52
	v_fmac_f32_e32 v1, -0.5, v5
	v_mul_f32_e32 v21, 0xbf5db3d7, v16
	v_add_f32_e32 v2, v2, v6
	v_add_f32_e32 v4, v4, v7
	v_sub_f32_e32 v6, v49, v6
	v_mov_b32_e32 v5, v1
	v_add_f32_e32 v7, v30, v50
	v_fmac_f32_e32 v21, 0.5, v15
	v_fmac_f32_e32 v5, 0x3f5db3d7, v6
	v_fmac_f32_e32 v1, 0xbf5db3d7, v6
	v_add_f32_e32 v6, v18, v30
	v_fmac_f32_e32 v18, -0.5, v7
	v_add_f32_e32 v14, v8, v21
	v_mul_f32_e32 v10, -0.5, v10
	v_sub_f32_e32 v26, v8, v21
	v_sub_f32_e32 v7, v31, v51
	v_mov_b32_e32 v11, v18
	v_add_f32_e32 v8, v31, v51
	v_fmac_f32_e32 v10, 0x3f5db3d7, v48
	v_fmac_f32_e32 v11, 0xbf5db3d7, v7
	v_fmac_f32_e32 v18, 0x3f5db3d7, v7
	v_add_f32_e32 v7, v19, v31
	v_fmac_f32_e32 v19, -0.5, v8
	v_add_f32_e32 v23, v9, v10
	v_sub_f32_e32 v29, v9, v10
	v_sub_f32_e32 v8, v30, v50
	v_mov_b32_e32 v10, v19
	v_fmac_f32_e32 v10, 0x3f5db3d7, v8
	v_mul_f32_e32 v16, 0.5, v16
	v_fmac_f32_e32 v19, 0xbf5db3d7, v8
	v_mul_f32_e32 v8, 0xbf5db3d7, v10
	v_mul_f32_e32 v10, 0.5, v10
	v_fmac_f32_e32 v16, 0x3f5db3d7, v15
	v_fmac_f32_e32 v8, 0.5, v11
	v_mul_f32_e32 v9, 0xbf5db3d7, v19
	v_fmac_f32_e32 v10, 0x3f5db3d7, v11
	v_mul_f32_e32 v11, -0.5, v19
	v_add_f32_e32 v15, v17, v16
	v_add_f32_e32 v6, v6, v50
	;; [unrolled: 1-line block ×3, first 2 shown]
	v_fmac_f32_e32 v9, -0.5, v18
	v_fmac_f32_e32 v11, 0x3f5db3d7, v18
	v_sub_f32_e32 v27, v17, v16
	v_sub_f32_e32 v16, v2, v6
	v_sub_f32_e32 v18, v3, v8
	v_sub_f32_e32 v20, v0, v9
	v_sub_f32_e32 v17, v4, v7
	v_sub_f32_e32 v19, v5, v10
	v_sub_f32_e32 v21, v1, v11
	s_barrier
	ds_write2_b64 v103, v[12:13], v[14:15] offset1:60
	ds_write2_b64 v103, v[22:23], v[24:25] offset0:120 offset1:180
	v_add_u32_e32 v12, 0x400, v103
	ds_write2_b64 v12, v[26:27], v[28:29] offset0:112 offset1:172
	s_and_saveexec_b64 s[2:3], s[0:1]
	s_cbranch_execz .LBB0_25
; %bb.24:
	v_add_f32_e32 v6, v2, v6
	v_mul_u32_u24_e32 v2, 0x168, v99
	v_add_u32_e32 v2, v2, v100
	v_add_f32_e32 v5, v5, v10
	v_add_f32_e32 v7, v4, v7
	;; [unrolled: 1-line block ×4, first 2 shown]
	v_lshl_add_u32 v2, v2, 3, v95
	v_add_f32_e32 v1, v1, v11
	ds_write2_b64 v2, v[6:7], v[4:5] offset1:60
	ds_write2_b64 v2, v[0:1], v[16:17] offset0:120 offset1:180
	v_add_u32_e32 v0, 0x400, v2
	ds_write2_b64 v0, v[18:19], v[20:21] offset0:112 offset1:172
.LBB0_25:
	s_or_b64 exec, exec, s[2:3]
	v_add_u32_e32 v8, 0x1400, v93
	s_waitcnt lgkmcnt(0)
	s_barrier
	v_add_u32_e32 v24, 0x400, v93
	ds_read2_b64 v[12:15], v8 offset0:80 offset1:188
	v_add_u32_e32 v8, 0xc00, v93
	ds_read2_b64 v[4:7], v93 offset1:108
	ds_read2_b64 v[0:3], v24 offset0:88 offset1:232
	ds_read2_b64 v[8:11], v8 offset0:84 offset1:192
	ds_read_b64 v[22:23], v93 offset:7488
	v_add_u32_e32 v25, 0x6c0, v96
	s_and_saveexec_b64 s[2:3], s[4:5]
	s_cbranch_execz .LBB0_27
; %bb.26:
	ds_read_b64 v[16:17], v93 offset:2592
	ds_read_b64 v[18:19], v93 offset:5472
	ds_read_b64 v[20:21], v93 offset:8352
.LBB0_27:
	s_or_b64 exec, exec, s[2:3]
	s_waitcnt lgkmcnt(2)
	v_mul_f32_e32 v26, v37, v3
	v_fmac_f32_e32 v26, v36, v2
	v_mul_f32_e32 v2, v37, v2
	v_fma_f32 v27, v36, v3, -v2
	v_mul_f32_e32 v28, v39, v13
	v_mul_f32_e32 v2, v39, v12
	v_fmac_f32_e32 v28, v38, v12
	v_fma_f32 v12, v38, v13, -v2
	s_waitcnt lgkmcnt(1)
	v_mul_f32_e32 v2, v41, v8
	v_fma_f32 v29, v40, v9, -v2
	v_mul_f32_e32 v30, v43, v15
	v_mul_f32_e32 v2, v43, v14
	v_fmac_f32_e32 v30, v42, v14
	v_fma_f32 v14, v42, v15, -v2
	v_mul_f32_e32 v2, v45, v10
	v_fma_f32 v36, v44, v11, -v2
	s_waitcnt lgkmcnt(0)
	v_mul_f32_e32 v2, v47, v22
	v_add_f32_e32 v3, v26, v28
	v_mul_f32_e32 v13, v41, v9
	v_mul_f32_e32 v37, v47, v23
	v_fma_f32 v23, v46, v23, -v2
	v_add_f32_e32 v2, v4, v26
	v_fma_f32 v4, -0.5, v3, v4
	v_fmac_f32_e32 v13, v40, v8
	v_sub_f32_e32 v3, v27, v12
	v_mov_b32_e32 v8, v4
	v_add_f32_e32 v9, v27, v12
	v_mul_f32_e32 v31, v45, v11
	v_fmac_f32_e32 v8, 0xbf5db3d7, v3
	v_fmac_f32_e32 v4, 0x3f5db3d7, v3
	v_add_f32_e32 v3, v5, v27
	v_fma_f32 v5, -0.5, v9, v5
	v_fmac_f32_e32 v31, v44, v10
	v_sub_f32_e32 v10, v26, v28
	v_mov_b32_e32 v9, v5
	v_add_f32_e32 v11, v13, v30
	v_fmac_f32_e32 v9, 0x3f5db3d7, v10
	v_fmac_f32_e32 v5, 0xbf5db3d7, v10
	v_add_f32_e32 v10, v6, v13
	v_fma_f32 v6, -0.5, v11, v6
	v_add_f32_e32 v3, v3, v12
	v_sub_f32_e32 v11, v29, v14
	v_mov_b32_e32 v12, v6
	v_fmac_f32_e32 v12, 0xbf5db3d7, v11
	v_fmac_f32_e32 v6, 0x3f5db3d7, v11
	v_add_f32_e32 v11, v7, v29
	v_add_f32_e32 v11, v11, v14
	;; [unrolled: 1-line block ×3, first 2 shown]
	v_fmac_f32_e32 v37, v46, v22
	v_fmac_f32_e32 v7, -0.5, v14
	v_sub_f32_e32 v14, v13, v30
	v_mov_b32_e32 v13, v7
	v_add_f32_e32 v15, v31, v37
	v_fmac_f32_e32 v13, 0x3f5db3d7, v14
	v_fmac_f32_e32 v7, 0xbf5db3d7, v14
	v_add_f32_e32 v14, v0, v31
	v_fma_f32 v0, -0.5, v15, v0
	v_sub_f32_e32 v15, v36, v23
	v_mov_b32_e32 v22, v0
	v_fmac_f32_e32 v22, 0xbf5db3d7, v15
	v_fmac_f32_e32 v0, 0x3f5db3d7, v15
	v_add_f32_e32 v15, v1, v36
	v_add_f32_e32 v15, v15, v23
	;; [unrolled: 1-line block ×5, first 2 shown]
	v_fmac_f32_e32 v1, -0.5, v23
	v_sub_f32_e32 v26, v31, v37
	v_mov_b32_e32 v23, v1
	ds_write2_b64 v93, v[2:3], v[10:11] offset1:108
	v_add_u32_e32 v2, 0xea0, v93
	v_add_f32_e32 v14, v14, v37
	v_fmac_f32_e32 v23, 0x3f5db3d7, v26
	v_fmac_f32_e32 v1, 0xbf5db3d7, v26
	ds_write2_b64 v2, v[12:13], v[4:5] offset1:252
	ds_write_b64 v93, v[6:7] offset:6624
	ds_write2_b64 v24, v[14:15], v[8:9] offset0:88 offset1:232
	ds_write_b64 v25, v[22:23] offset:2880
	ds_write_b64 v25, v[0:1] offset:5760
	s_and_saveexec_b64 s[2:3], s[4:5]
	s_cbranch_execz .LBB0_29
; %bb.28:
	v_mul_f32_e32 v0, v33, v18
	v_fma_f32 v2, v32, v19, -v0
	v_mul_f32_e32 v0, v35, v20
	v_fma_f32 v4, v34, v21, -v0
	v_add_f32_e32 v0, v2, v4
	v_mul_f32_e32 v6, v33, v19
	v_mul_f32_e32 v7, v35, v21
	v_fma_f32 v1, -0.5, v0, v17
	v_fmac_f32_e32 v6, v32, v18
	v_fmac_f32_e32 v7, v34, v20
	v_sub_f32_e32 v0, v6, v7
	v_mov_b32_e32 v3, v1
	v_fmac_f32_e32 v3, 0xbf5db3d7, v0
	v_fmac_f32_e32 v1, 0x3f5db3d7, v0
	v_add_f32_e32 v0, v17, v2
	v_add_f32_e32 v5, v0, v4
	;; [unrolled: 1-line block ×3, first 2 shown]
	v_fma_f32 v0, -0.5, v0, v16
	v_sub_f32_e32 v4, v2, v4
	v_mov_b32_e32 v2, v0
	v_fmac_f32_e32 v2, 0x3f5db3d7, v4
	v_fmac_f32_e32 v0, 0xbf5db3d7, v4
	v_add_f32_e32 v4, v16, v6
	v_add_f32_e32 v4, v4, v7
	ds_write_b64 v93, v[4:5] offset:2592
	ds_write_b64 v93, v[0:1] offset:5472
	;; [unrolled: 1-line block ×3, first 2 shown]
.LBB0_29:
	s_or_b64 exec, exec, s[2:3]
	s_waitcnt lgkmcnt(0)
	s_barrier
	ds_read2_b64 v[0:3], v93 offset1:180
	v_mad_u64_u32 v[4:5], s[2:3], s10, v66, 0
	s_mov_b32 s2, 0xc901e574
	s_mov_b32 s3, 0x3f4e573a
	s_waitcnt lgkmcnt(0)
	v_mul_f32_e32 v6, v78, v1
	v_fmac_f32_e32 v6, v77, v0
	v_cvt_f64_f32_e32 v[6:7], v6
	v_mul_f32_e32 v0, v78, v0
	v_fma_f32 v0, v77, v1, -v0
	v_cvt_f64_f32_e32 v[0:1], v0
	v_mul_f64 v[6:7], v[6:7], s[2:3]
	v_mad_u64_u32 v[8:9], s[4:5], s8, v94, 0
	v_mul_f64 v[0:1], v[0:1], s[2:3]
	v_mad_u64_u32 v[10:11], s[4:5], s11, v66, v[5:6]
	v_mov_b32_e32 v5, v9
	v_mad_u64_u32 v[11:12], s[4:5], s9, v94, v[5:6]
	v_mov_b32_e32 v5, v10
	v_cvt_f32_f64_e32 v6, v[6:7]
	v_cvt_f32_f64_e32 v7, v[0:1]
	v_lshlrev_b64 v[0:1], 3, v[4:5]
	v_mul_f32_e32 v4, v76, v3
	v_fmac_f32_e32 v4, v75, v2
	v_mul_f32_e32 v2, v76, v2
	v_cvt_f64_f32_e32 v[4:5], v4
	v_fma_f32 v2, v75, v3, -v2
	v_cvt_f64_f32_e32 v[2:3], v2
	v_mov_b32_e32 v9, v11
	v_mov_b32_e32 v10, s7
	v_add_co_u32_e32 v11, vcc, s6, v0
	v_addc_co_u32_e32 v10, vcc, v10, v1, vcc
	v_mul_f64 v[0:1], v[4:5], s[2:3]
	v_mul_f64 v[2:3], v[2:3], s[2:3]
	v_lshlrev_b64 v[4:5], 3, v[8:9]
	s_mul_i32 s4, s9, 0xb4
	v_add_co_u32_e32 v4, vcc, v11, v4
	v_addc_co_u32_e32 v5, vcc, v10, v5, vcc
	global_store_dwordx2 v[4:5], v[6:7], off
	v_cvt_f32_f64_e32 v6, v[0:1]
	v_add_u32_e32 v0, 0xa00, v93
	v_cvt_f32_f64_e32 v7, v[2:3]
	ds_read2_b64 v[0:3], v0 offset0:40 offset1:220
	s_mul_hi_u32 s5, s8, 0xb4
	s_add_i32 s5, s5, s4
	s_mul_i32 s4, s8, 0xb4
	s_lshl_b64 s[4:5], s[4:5], 3
	s_waitcnt lgkmcnt(0)
	v_mul_f32_e32 v8, v72, v1
	v_fmac_f32_e32 v8, v71, v0
	v_mul_f32_e32 v0, v72, v0
	v_fma_f32 v0, v71, v1, -v0
	v_cvt_f64_f32_e32 v[8:9], v8
	v_cvt_f64_f32_e32 v[0:1], v0
	v_mov_b32_e32 v12, s5
	v_add_co_u32_e32 v4, vcc, s4, v4
	v_addc_co_u32_e32 v5, vcc, v5, v12, vcc
	global_store_dwordx2 v[4:5], v[6:7], off
	v_mul_f64 v[6:7], v[8:9], s[2:3]
	v_mul_f64 v[0:1], v[0:1], s[2:3]
	v_mul_f32_e32 v8, v74, v3
	v_fmac_f32_e32 v8, v73, v2
	v_cvt_f64_f32_e32 v[8:9], v8
	v_mul_f32_e32 v2, v74, v2
	v_fma_f32 v2, v73, v3, -v2
	v_cvt_f64_f32_e32 v[2:3], v2
	v_mul_f64 v[8:9], v[8:9], s[2:3]
	v_cvt_f32_f64_e32 v6, v[6:7]
	v_cvt_f32_f64_e32 v7, v[0:1]
	v_add_u32_e32 v0, 0x1600, v93
	v_mul_f64 v[10:11], v[2:3], s[2:3]
	ds_read2_b64 v[0:3], v0 offset0:16 offset1:196
	v_add_co_u32_e32 v4, vcc, s4, v4
	v_addc_co_u32_e32 v5, vcc, v5, v12, vcc
	global_store_dwordx2 v[4:5], v[6:7], off
	v_cvt_f32_f64_e32 v6, v[8:9]
	s_waitcnt lgkmcnt(0)
	v_mul_f32_e32 v8, v70, v1
	v_fmac_f32_e32 v8, v69, v0
	v_cvt_f64_f32_e32 v[8:9], v8
	v_mul_f32_e32 v0, v70, v0
	v_cvt_f32_f64_e32 v7, v[10:11]
	v_fma_f32 v0, v69, v1, -v0
	v_mul_f64 v[8:9], v[8:9], s[2:3]
	v_mul_f32_e32 v10, v68, v3
	v_cvt_f64_f32_e32 v[0:1], v0
	v_fmac_f32_e32 v10, v67, v2
	v_mul_f32_e32 v2, v68, v2
	v_fma_f32 v2, v67, v3, -v2
	v_cvt_f64_f32_e32 v[10:11], v10
	v_cvt_f64_f32_e32 v[2:3], v2
	v_add_co_u32_e32 v4, vcc, s4, v4
	v_mul_f64 v[0:1], v[0:1], s[2:3]
	v_addc_co_u32_e32 v5, vcc, v5, v12, vcc
	global_store_dwordx2 v[4:5], v[6:7], off
	v_cvt_f32_f64_e32 v6, v[8:9]
	v_mul_f64 v[8:9], v[10:11], s[2:3]
	v_mul_f64 v[2:3], v[2:3], s[2:3]
	v_cvt_f32_f64_e32 v7, v[0:1]
	v_add_co_u32_e32 v0, vcc, s4, v4
	v_addc_co_u32_e32 v1, vcc, v5, v12, vcc
	v_cvt_f32_f64_e32 v4, v[8:9]
	v_cvt_f32_f64_e32 v5, v[2:3]
	global_store_dwordx2 v[0:1], v[6:7], off
	v_add_co_u32_e32 v0, vcc, s4, v0
	v_addc_co_u32_e32 v1, vcc, v1, v12, vcc
	global_store_dwordx2 v[0:1], v[4:5], off
	s_and_b64 exec, exec, s[0:1]
	s_cbranch_execz .LBB0_31
; %bb.30:
	s_movk_i32 s0, 0x1000
	global_load_dwordx2 v[14:15], v[64:65], off offset:864
	global_load_dwordx2 v[16:17], v[64:65], off offset:2304
	;; [unrolled: 1-line block ×3, first 2 shown]
	v_add_co_u32_e32 v2, vcc, s0, v64
	v_addc_co_u32_e32 v3, vcc, 0, v65, vcc
	global_load_dwordx2 v[20:21], v[2:3], off offset:1088
	global_load_dwordx2 v[22:23], v[2:3], off offset:2528
	;; [unrolled: 1-line block ×3, first 2 shown]
	v_add_u32_e32 v2, 0x200, v93
	ds_read2_b64 v[2:5], v2 offset0:44 offset1:224
	v_mov_b32_e32 v6, 0xffffe740
	v_add_u32_e32 v7, 0xe00, v93
	v_add_u32_e32 v10, 0x1800, v93
	v_mad_u64_u32 v[0:1], s[0:1], s8, v6, v[0:1]
	ds_read2_b64 v[6:9], v7 offset0:20 offset1:200
	ds_read2_b64 v[10:13], v10 offset0:60 offset1:240
	s_mul_i32 s6, s9, 0xffffe740
	s_sub_i32 s0, s6, s8
	v_mov_b32_e32 v32, s5
	v_add_u32_e32 v1, s0, v1
	v_add_co_u32_e32 v26, vcc, s4, v0
	v_addc_co_u32_e32 v27, vcc, v1, v32, vcc
	v_add_co_u32_e32 v28, vcc, s4, v26
	v_addc_co_u32_e32 v29, vcc, v27, v32, vcc
	;; [unrolled: 2-line block ×3, first 2 shown]
	s_waitcnt vmcnt(5) lgkmcnt(2)
	v_mul_f32_e32 v33, v3, v15
	v_mul_f32_e32 v15, v2, v15
	s_waitcnt vmcnt(4)
	v_mul_f32_e32 v34, v5, v17
	v_mul_f32_e32 v17, v4, v17
	s_waitcnt vmcnt(3) lgkmcnt(1)
	v_mul_f32_e32 v35, v7, v19
	v_mul_f32_e32 v19, v6, v19
	v_fmac_f32_e32 v33, v2, v14
	v_fma_f32 v14, v14, v3, -v15
	v_fmac_f32_e32 v34, v4, v16
	v_fma_f32 v15, v16, v5, -v17
	;; [unrolled: 2-line block ×3, first 2 shown]
	v_cvt_f64_f32_e32 v[2:3], v33
	v_cvt_f64_f32_e32 v[4:5], v14
	;; [unrolled: 1-line block ×3, first 2 shown]
	s_waitcnt vmcnt(2)
	v_mul_f32_e32 v33, v9, v21
	v_mul_f32_e32 v21, v8, v21
	s_waitcnt vmcnt(1) lgkmcnt(0)
	v_mul_f32_e32 v34, v11, v23
	v_mul_f32_e32 v23, v10, v23
	v_cvt_f64_f32_e32 v[14:15], v15
	v_cvt_f64_f32_e32 v[16:17], v35
	s_waitcnt vmcnt(0)
	v_mul_f32_e32 v35, v13, v25
	v_mul_f32_e32 v25, v12, v25
	v_fmac_f32_e32 v33, v8, v20
	v_fma_f32 v20, v20, v9, -v21
	v_fmac_f32_e32 v34, v10, v22
	v_fma_f32 v21, v22, v11, -v23
	v_cvt_f64_f32_e32 v[18:19], v18
	v_fmac_f32_e32 v35, v12, v24
	v_fma_f32 v24, v24, v13, -v25
	v_cvt_f64_f32_e32 v[8:9], v33
	v_cvt_f64_f32_e32 v[10:11], v20
	;; [unrolled: 1-line block ×6, first 2 shown]
	v_mul_f64 v[2:3], v[2:3], s[2:3]
	v_mul_f64 v[4:5], v[4:5], s[2:3]
	;; [unrolled: 1-line block ×12, first 2 shown]
	v_cvt_f32_f64_e32 v2, v[2:3]
	v_cvt_f32_f64_e32 v3, v[4:5]
	;; [unrolled: 1-line block ×10, first 2 shown]
	global_store_dwordx2 v[0:1], v[2:3], off
	global_store_dwordx2 v[26:27], v[4:5], off
	;; [unrolled: 1-line block ×4, first 2 shown]
	v_add_co_u32_e32 v0, vcc, s4, v30
	v_cvt_f32_f64_e32 v2, v[22:23]
	v_cvt_f32_f64_e32 v3, v[24:25]
	v_addc_co_u32_e32 v1, vcc, v31, v32, vcc
	global_store_dwordx2 v[0:1], v[10:11], off
	v_add_co_u32_e32 v0, vcc, s4, v0
	v_addc_co_u32_e32 v1, vcc, v1, v32, vcc
	global_store_dwordx2 v[0:1], v[2:3], off
.LBB0_31:
	s_endpgm
	.section	.rodata,"a",@progbits
	.p2align	6, 0x0
	.amdhsa_kernel bluestein_single_fwd_len1080_dim1_sp_op_CI_CI
		.amdhsa_group_segment_fixed_size 17280
		.amdhsa_private_segment_fixed_size 0
		.amdhsa_kernarg_size 104
		.amdhsa_user_sgpr_count 6
		.amdhsa_user_sgpr_private_segment_buffer 1
		.amdhsa_user_sgpr_dispatch_ptr 0
		.amdhsa_user_sgpr_queue_ptr 0
		.amdhsa_user_sgpr_kernarg_segment_ptr 1
		.amdhsa_user_sgpr_dispatch_id 0
		.amdhsa_user_sgpr_flat_scratch_init 0
		.amdhsa_user_sgpr_private_segment_size 0
		.amdhsa_uses_dynamic_stack 0
		.amdhsa_system_sgpr_private_segment_wavefront_offset 0
		.amdhsa_system_sgpr_workgroup_id_x 1
		.amdhsa_system_sgpr_workgroup_id_y 0
		.amdhsa_system_sgpr_workgroup_id_z 0
		.amdhsa_system_sgpr_workgroup_info 0
		.amdhsa_system_vgpr_workitem_id 0
		.amdhsa_next_free_vgpr 126
		.amdhsa_next_free_sgpr 22
		.amdhsa_reserve_vcc 1
		.amdhsa_reserve_flat_scratch 0
		.amdhsa_float_round_mode_32 0
		.amdhsa_float_round_mode_16_64 0
		.amdhsa_float_denorm_mode_32 3
		.amdhsa_float_denorm_mode_16_64 3
		.amdhsa_dx10_clamp 1
		.amdhsa_ieee_mode 1
		.amdhsa_fp16_overflow 0
		.amdhsa_exception_fp_ieee_invalid_op 0
		.amdhsa_exception_fp_denorm_src 0
		.amdhsa_exception_fp_ieee_div_zero 0
		.amdhsa_exception_fp_ieee_overflow 0
		.amdhsa_exception_fp_ieee_underflow 0
		.amdhsa_exception_fp_ieee_inexact 0
		.amdhsa_exception_int_div_zero 0
	.end_amdhsa_kernel
	.text
.Lfunc_end0:
	.size	bluestein_single_fwd_len1080_dim1_sp_op_CI_CI, .Lfunc_end0-bluestein_single_fwd_len1080_dim1_sp_op_CI_CI
                                        ; -- End function
	.section	.AMDGPU.csdata,"",@progbits
; Kernel info:
; codeLenInByte = 10372
; NumSgprs: 26
; NumVgprs: 126
; ScratchSize: 0
; MemoryBound: 0
; FloatMode: 240
; IeeeMode: 1
; LDSByteSize: 17280 bytes/workgroup (compile time only)
; SGPRBlocks: 3
; VGPRBlocks: 31
; NumSGPRsForWavesPerEU: 26
; NumVGPRsForWavesPerEU: 126
; Occupancy: 2
; WaveLimiterHint : 1
; COMPUTE_PGM_RSRC2:SCRATCH_EN: 0
; COMPUTE_PGM_RSRC2:USER_SGPR: 6
; COMPUTE_PGM_RSRC2:TRAP_HANDLER: 0
; COMPUTE_PGM_RSRC2:TGID_X_EN: 1
; COMPUTE_PGM_RSRC2:TGID_Y_EN: 0
; COMPUTE_PGM_RSRC2:TGID_Z_EN: 0
; COMPUTE_PGM_RSRC2:TIDIG_COMP_CNT: 0
	.type	__hip_cuid_d3f2efdc48b10bb2,@object ; @__hip_cuid_d3f2efdc48b10bb2
	.section	.bss,"aw",@nobits
	.globl	__hip_cuid_d3f2efdc48b10bb2
__hip_cuid_d3f2efdc48b10bb2:
	.byte	0                               ; 0x0
	.size	__hip_cuid_d3f2efdc48b10bb2, 1

	.ident	"AMD clang version 19.0.0git (https://github.com/RadeonOpenCompute/llvm-project roc-6.4.0 25133 c7fe45cf4b819c5991fe208aaa96edf142730f1d)"
	.section	".note.GNU-stack","",@progbits
	.addrsig
	.addrsig_sym __hip_cuid_d3f2efdc48b10bb2
	.amdgpu_metadata
---
amdhsa.kernels:
  - .args:
      - .actual_access:  read_only
        .address_space:  global
        .offset:         0
        .size:           8
        .value_kind:     global_buffer
      - .actual_access:  read_only
        .address_space:  global
        .offset:         8
        .size:           8
        .value_kind:     global_buffer
      - .actual_access:  read_only
        .address_space:  global
        .offset:         16
        .size:           8
        .value_kind:     global_buffer
      - .actual_access:  read_only
        .address_space:  global
        .offset:         24
        .size:           8
        .value_kind:     global_buffer
      - .actual_access:  read_only
        .address_space:  global
        .offset:         32
        .size:           8
        .value_kind:     global_buffer
      - .offset:         40
        .size:           8
        .value_kind:     by_value
      - .address_space:  global
        .offset:         48
        .size:           8
        .value_kind:     global_buffer
      - .address_space:  global
        .offset:         56
        .size:           8
        .value_kind:     global_buffer
      - .address_space:  global
        .offset:         64
        .size:           8
        .value_kind:     global_buffer
      - .address_space:  global
        .offset:         72
        .size:           8
        .value_kind:     global_buffer
      - .offset:         80
        .size:           4
        .value_kind:     by_value
      - .address_space:  global
        .offset:         88
        .size:           8
        .value_kind:     global_buffer
      - .address_space:  global
        .offset:         96
        .size:           8
        .value_kind:     global_buffer
    .group_segment_fixed_size: 17280
    .kernarg_segment_align: 8
    .kernarg_segment_size: 104
    .language:       OpenCL C
    .language_version:
      - 2
      - 0
    .max_flat_workgroup_size: 216
    .name:           bluestein_single_fwd_len1080_dim1_sp_op_CI_CI
    .private_segment_fixed_size: 0
    .sgpr_count:     26
    .sgpr_spill_count: 0
    .symbol:         bluestein_single_fwd_len1080_dim1_sp_op_CI_CI.kd
    .uniform_work_group_size: 1
    .uses_dynamic_stack: false
    .vgpr_count:     126
    .vgpr_spill_count: 0
    .wavefront_size: 64
amdhsa.target:   amdgcn-amd-amdhsa--gfx906
amdhsa.version:
  - 1
  - 2
...

	.end_amdgpu_metadata
